;; amdgpu-corpus repo=pytorch/pytorch kind=compiled arch=gfx906 opt=O3
	.amdgcn_target "amdgcn-amd-amdhsa--gfx906"
	.amdhsa_code_object_version 6
	.section	.text._ZN2at6native12_GLOBAL__N_125multi_tensor_apply_kernelINS1_32FusedOptimizerTensorListMetadataILi3EEENS1_23FusedAdagradMathFunctorIdEEJPKfddddbS8_S8_EEEvT_T0_DpT1_,"axG",@progbits,_ZN2at6native12_GLOBAL__N_125multi_tensor_apply_kernelINS1_32FusedOptimizerTensorListMetadataILi3EEENS1_23FusedAdagradMathFunctorIdEEJPKfddddbS8_S8_EEEvT_T0_DpT1_,comdat
	.globl	_ZN2at6native12_GLOBAL__N_125multi_tensor_apply_kernelINS1_32FusedOptimizerTensorListMetadataILi3EEENS1_23FusedAdagradMathFunctorIdEEJPKfddddbS8_S8_EEEvT_T0_DpT1_ ; -- Begin function _ZN2at6native12_GLOBAL__N_125multi_tensor_apply_kernelINS1_32FusedOptimizerTensorListMetadataILi3EEENS1_23FusedAdagradMathFunctorIdEEJPKfddddbS8_S8_EEEvT_T0_DpT1_
	.p2align	8
	.type	_ZN2at6native12_GLOBAL__N_125multi_tensor_apply_kernelINS1_32FusedOptimizerTensorListMetadataILi3EEENS1_23FusedAdagradMathFunctorIdEEJPKfddddbS8_S8_EEEvT_T0_DpT1_,@function
_ZN2at6native12_GLOBAL__N_125multi_tensor_apply_kernelINS1_32FusedOptimizerTensorListMetadataILi3EEENS1_23FusedAdagradMathFunctorIdEEJPKfddddbS8_S8_EEEvT_T0_DpT1_: ; @_ZN2at6native12_GLOBAL__N_125multi_tensor_apply_kernelINS1_32FusedOptimizerTensorListMetadataILi3EEENS1_23FusedAdagradMathFunctorIdEEJPKfddddbS8_S8_EEEvT_T0_DpT1_
; %bb.0:
	v_mov_b32_e32 v1, s6
	global_load_ubyte v1, v1, s[4:5] offset:1920
	s_load_dwordx8 s[8:15], s[4:5], 0xdd0
	s_add_u32 s0, s4, s6
	s_mul_hi_u32 s1, s6, 3
	s_mul_i32 s6, s6, 3
	s_addc_u32 s3, s5, 0
	s_add_u32 s2, s0, s6
	s_addc_u32 s3, s3, s1
	s_waitcnt lgkmcnt(0)
	s_cmp_eq_u64 s[8:9], 0
	s_waitcnt vmcnt(0)
	v_readfirstlane_b32 s6, v1
	v_mov_b32_e32 v1, s10
	v_mov_b32_e32 v2, s11
	s_cbranch_scc1 .LBB0_2
; %bb.1:
	s_load_dword s0, s[8:9], 0x0
	s_waitcnt lgkmcnt(0)
	v_cvt_f64_f32_e32 v[1:2], s0
.LBB0_2:
	s_load_dwordx4 s[16:19], s[4:5], 0xe00
	s_waitcnt lgkmcnt(0)
	s_cmp_eq_u64 s[18:19], 0
	s_cselect_b64 s[0:1], -1, 0
	s_and_b64 vcc, exec, s[0:1]
	s_cbranch_vccnz .LBB0_4
; %bb.3:
	s_load_dword s0, s[18:19], 0x0
	s_waitcnt lgkmcnt(0)
	v_cmp_neq_f32_e64 s[0:1], s0, 1.0
.LBB0_4:
	s_andn2_b64 vcc, exec, s[0:1]
	s_cbranch_vccnz .LBB0_74
; %bb.5:
	s_load_dword s0, s[4:5], 0xdf8
	s_waitcnt lgkmcnt(0)
	s_bitcmp1_b32 s0, 0
	s_cselect_b64 s[0:1], -1, 0
	s_and_b32 s6, s6, 0xff
	s_lshl_b32 s22, s6, 3
	s_load_dwordx2 s[6:7], s[4:5], s22 offset:0x600
	s_waitcnt lgkmcnt(0)
	s_load_dword s6, s[6:7], 0x0
	s_waitcnt lgkmcnt(0)
	v_add_f32_e64 v3, s6, -1.0
	v_cvt_f64_f32_e32 v[3:4], v3
	v_fma_f64 v[3:4], s[12:13], v[3:4], 1.0
	v_div_scale_f64 v[5:6], s[6:7], v[3:4], v[3:4], v[1:2]
	s_load_dword s6, s[2:3], 0x8c0
	s_load_dwordx2 s[18:19], s[4:5], 0xdf0
	s_load_dwordx2 s[26:27], s[4:5], s22 offset:0x480
	s_load_dwordx2 s[12:13], s[4:5], s22 offset:0x0
	;; [unrolled: 1-line block ×4, first 2 shown]
	s_mov_b32 s3, 0
	s_mov_b32 s25, s3
	s_waitcnt lgkmcnt(0)
	s_ashr_i32 s7, s6, 31
	s_lshl_b64 s[20:21], s[6:7], 16
	s_sub_u32 s22, s26, s20
	s_subb_u32 s23, s27, s21
	s_lshl_b64 s[20:21], s[6:7], 19
	s_add_u32 s33, s12, s20
	s_addc_u32 s34, s13, s21
	s_and_b32 s2, s33, 31
	s_add_u32 s35, s10, s20
	s_addc_u32 s36, s11, s21
	v_rcp_f64_e32 v[7:8], v[5:6]
	s_add_u32 s37, s8, s20
	s_addc_u32 s38, s9, s21
	s_or_b32 s6, s37, s35
	s_and_b32 s6, s6, 31
	s_cmp_lg_u32 s6, 0
	s_cselect_b64 s[6:7], -1, 0
	s_and_b32 s24, s26, 3
	s_or_b64 s[2:3], s[2:3], s[24:25]
	s_cmp_lg_u64 s[2:3], 0
	s_cselect_b64 s[2:3], -1, 0
	s_or_b64 s[2:3], s[6:7], s[2:3]
	v_fma_f64 v[9:10], -v[5:6], v[7:8], 1.0
	v_fma_f64 v[7:8], v[7:8], v[9:10], v[7:8]
	v_div_scale_f64 v[9:10], vcc, v[1:2], v[3:4], v[1:2]
	v_fma_f64 v[11:12], -v[5:6], v[7:8], 1.0
	v_fma_f64 v[7:8], v[7:8], v[11:12], v[7:8]
	v_mul_f64 v[11:12], v[9:10], v[7:8]
	v_fma_f64 v[5:6], -v[5:6], v[11:12], v[9:10]
	v_div_fmas_f64 v[5:6], v[5:6], v[7:8], v[11:12]
	s_andn2_b64 vcc, exec, s[2:3]
	s_mov_b64 s[2:3], -1
	v_div_fixup_f64 v[25:26], v[5:6], v[3:4], v[1:2]
	s_cbranch_vccz .LBB0_20
; %bb.6:
	v_mov_b32_e32 v1, 0x10000
	v_mov_b32_e32 v2, 0
	v_cmp_lt_i64_e32 vcc, s[22:23], v[1:2]
	v_mov_b32_e32 v28, 0
	s_and_b64 s[2:3], vcc, exec
	s_cselect_b32 s25, s23, 0
	s_cselect_b32 s24, s22, 0x10000
	v_lshlrev_b32_e32 v27, 2, v0
	v_cmp_gt_i64_e32 vcc, s[24:25], v[27:28]
	s_and_saveexec_b64 s[26:27], vcc
	s_cbranch_execz .LBB0_19
; %bb.7:
	v_cmp_neq_f64_e64 s[2:3], s[14:15], 0
	s_load_dword s30, s[4:5], 0xe1c
	s_cmp_lg_u64 s[16:17], 0
	v_mov_b32_e32 v1, v28
	s_cselect_b64 s[6:7], -1, 0
	v_cndmask_b32_e64 v2, 0, 1, s[6:7]
	s_waitcnt lgkmcnt(0)
	s_and_b32 s39, s30, 0xffff
	s_mov_b32 s30, 0
	v_mov_b32_e32 v30, v1
	s_mov_b64 s[28:29], 0
	v_lshlrev_b32_e32 v27, 5, v0
	s_lshl_b32 s40, s39, 5
	v_cmp_ne_u32_e64 s[6:7], 1, v2
	s_brev_b32 s31, 8
	v_mov_b32_e32 v37, 0x260
	v_mov_b32_e32 v38, 0x100
	;; [unrolled: 1-line block ×4, first 2 shown]
	s_branch .LBB0_9
.LBB0_8:                                ;   in Loop: Header=BB0_9 Depth=1
	v_add_co_u32_e32 v29, vcc, s39, v29
	s_add_u32 s37, s37, s40
	v_addc_co_u32_e32 v30, vcc, 0, v30, vcc
	s_addc_u32 s38, s38, 0
	v_lshlrev_b64 v[1:2], 2, v[29:30]
	s_add_u32 s33, s33, s40
	s_addc_u32 s34, s34, 0
	s_add_u32 s35, s35, s40
	v_cmp_le_i64_e32 vcc, s[24:25], v[1:2]
	s_addc_u32 s36, s36, 0
	s_or_b64 s[28:29], vcc, s[28:29]
	global_store_dwordx4 v[31:32], v[17:20], off
	global_store_dwordx4 v[31:32], v[13:16], off offset:16
	s_andn2_b64 exec, exec, s[28:29]
	s_cbranch_execz .LBB0_19
.LBB0_9:                                ; =>This Inner Loop Header: Depth=1
	v_mov_b32_e32 v1, s34
	v_add_co_u32_e32 v35, vcc, s33, v27
	v_addc_co_u32_e32 v36, vcc, 0, v1, vcc
	v_mov_b32_e32 v1, s36
	v_add_co_u32_e32 v33, vcc, s35, v27
	v_addc_co_u32_e32 v34, vcc, 0, v1, vcc
	;; [unrolled: 3-line block ×3, first 2 shown]
	global_load_dwordx4 v[9:12], v[35:36], off offset:16
	global_load_dwordx4 v[21:24], v[35:36], off
	global_load_dwordx4 v[1:4], v[33:34], off offset:16
	global_load_dwordx4 v[5:8], v[33:34], off
	;; [unrolled: 2-line block ×3, first 2 shown]
	s_and_b64 vcc, exec, s[6:7]
	s_cbranch_vccnz .LBB0_11
; %bb.10:                               ;   in Loop: Header=BB0_9 Depth=1
	global_load_dword v40, v28, s[16:17]
	s_waitcnt vmcnt(0)
	v_cvt_f64_f32_e32 v[40:41], v40
	v_div_scale_f64 v[42:43], s[42:43], v[40:41], v[40:41], v[5:6]
	v_div_scale_f64 v[48:49], vcc, v[5:6], v[40:41], v[5:6]
	v_rcp_f64_e32 v[44:45], v[42:43]
	v_fma_f64 v[46:47], -v[42:43], v[44:45], 1.0
	v_fma_f64 v[44:45], v[44:45], v[46:47], v[44:45]
	v_fma_f64 v[46:47], -v[42:43], v[44:45], 1.0
	v_fma_f64 v[44:45], v[44:45], v[46:47], v[44:45]
	v_mul_f64 v[46:47], v[48:49], v[44:45]
	v_fma_f64 v[42:43], -v[42:43], v[46:47], v[48:49]
	v_div_fmas_f64 v[42:43], v[42:43], v[44:45], v[46:47]
	v_div_fixup_f64 v[5:6], v[42:43], v[40:41], v[5:6]
.LBB0_11:                               ;   in Loop: Header=BB0_9 Depth=1
	s_and_b64 vcc, exec, s[6:7]
	s_cbranch_vccnz .LBB0_13
; %bb.12:                               ;   in Loop: Header=BB0_9 Depth=1
	global_load_dword v40, v28, s[16:17]
	s_waitcnt vmcnt(0)
	v_cvt_f64_f32_e32 v[40:41], v40
	v_div_scale_f64 v[42:43], s[42:43], v[40:41], v[40:41], v[7:8]
	v_div_scale_f64 v[48:49], vcc, v[7:8], v[40:41], v[7:8]
	v_rcp_f64_e32 v[44:45], v[42:43]
	v_fma_f64 v[46:47], -v[42:43], v[44:45], 1.0
	v_fma_f64 v[44:45], v[44:45], v[46:47], v[44:45]
	v_fma_f64 v[46:47], -v[42:43], v[44:45], 1.0
	v_fma_f64 v[44:45], v[44:45], v[46:47], v[44:45]
	v_mul_f64 v[46:47], v[48:49], v[44:45]
	v_fma_f64 v[42:43], -v[42:43], v[46:47], v[48:49]
	v_div_fmas_f64 v[42:43], v[42:43], v[44:45], v[46:47]
	v_div_fixup_f64 v[7:8], v[42:43], v[40:41], v[7:8]
.LBB0_13:                               ;   in Loop: Header=BB0_9 Depth=1
	;; [unrolled: 18-line block ×4, first 2 shown]
	s_waitcnt vmcnt(3)
	v_xor_b32_e32 v40, 0x80000000, v2
	v_cndmask_b32_e64 v41, v2, v40, s[0:1]
	v_mov_b32_e32 v40, v1
	v_fma_f64 v[42:43], s[14:15], v[9:10], v[40:41]
	v_cndmask_b32_e64 v41, v41, v43, s[2:3]
	v_cndmask_b32_e64 v40, v1, v42, s[2:3]
	s_waitcnt vmcnt(1)
	v_fma_f64 v[13:14], v[40:41], v[40:41], v[13:14]
	v_mul_f64 v[40:41], v[25:26], v[40:41]
	v_cmp_gt_f64_e32 vcc, s[30:31], v[13:14]
	v_cndmask_b32_e32 v42, 0, v38, vcc
	v_ldexp_f64 v[42:43], v[13:14], v42
	v_rsq_f64_e32 v[44:45], v[42:43]
	v_mul_f64 v[46:47], v[42:43], v[44:45]
	v_mul_f64 v[44:45], v[44:45], 0.5
	v_fma_f64 v[48:49], -v[44:45], v[46:47], 0.5
	v_fma_f64 v[46:47], v[46:47], v[48:49], v[46:47]
	v_fma_f64 v[44:45], v[44:45], v[48:49], v[44:45]
	v_fma_f64 v[50:51], -v[46:47], v[46:47], v[42:43]
	v_fma_f64 v[46:47], v[50:51], v[44:45], v[46:47]
	v_fma_f64 v[48:49], -v[46:47], v[46:47], v[42:43]
	v_fma_f64 v[44:45], v[48:49], v[44:45], v[46:47]
	v_cndmask_b32_e32 v46, 0, v39, vcc
	v_cmp_class_f64_e32 vcc, v[42:43], v37
	v_ldexp_f64 v[44:45], v[44:45], v46
	v_cndmask_b32_e32 v43, v45, v43, vcc
	v_cndmask_b32_e32 v42, v44, v42, vcc
	v_add_f64 v[42:43], s[18:19], v[42:43]
	v_div_scale_f64 v[44:45], s[42:43], v[42:43], v[42:43], v[40:41]
	v_rcp_f64_e32 v[46:47], v[44:45]
	v_fma_f64 v[48:49], -v[44:45], v[46:47], 1.0
	v_fma_f64 v[46:47], v[46:47], v[48:49], v[46:47]
	v_fma_f64 v[48:49], -v[44:45], v[46:47], 1.0
	v_fma_f64 v[46:47], v[46:47], v[48:49], v[46:47]
	v_div_scale_f64 v[48:49], vcc, v[40:41], v[42:43], v[40:41]
	v_mul_f64 v[50:51], v[48:49], v[46:47]
	v_fma_f64 v[44:45], -v[44:45], v[50:51], v[48:49]
	s_nop 1
	v_div_fmas_f64 v[44:45], v[44:45], v[46:47], v[50:51]
	v_div_fixup_f64 v[40:41], v[44:45], v[42:43], v[40:41]
	v_add_f64 v[9:10], v[9:10], -v[40:41]
	v_xor_b32_e32 v40, 0x80000000, v8
	v_cndmask_b32_e64 v41, v8, v40, s[0:1]
	v_mov_b32_e32 v40, v7
	v_fma_f64 v[42:43], s[14:15], v[23:24], v[40:41]
	v_cndmask_b32_e64 v41, v41, v43, s[2:3]
	v_cndmask_b32_e64 v40, v7, v42, s[2:3]
	s_waitcnt vmcnt(0)
	v_fma_f64 v[19:20], v[40:41], v[40:41], v[19:20]
	v_mul_f64 v[40:41], v[25:26], v[40:41]
	v_cmp_gt_f64_e32 vcc, s[30:31], v[19:20]
	v_cndmask_b32_e32 v42, 0, v38, vcc
	v_ldexp_f64 v[42:43], v[19:20], v42
	v_rsq_f64_e32 v[44:45], v[42:43]
	v_mul_f64 v[46:47], v[42:43], v[44:45]
	v_mul_f64 v[44:45], v[44:45], 0.5
	v_fma_f64 v[48:49], -v[44:45], v[46:47], 0.5
	v_fma_f64 v[46:47], v[46:47], v[48:49], v[46:47]
	v_fma_f64 v[44:45], v[44:45], v[48:49], v[44:45]
	v_fma_f64 v[50:51], -v[46:47], v[46:47], v[42:43]
	v_fma_f64 v[46:47], v[50:51], v[44:45], v[46:47]
	v_fma_f64 v[48:49], -v[46:47], v[46:47], v[42:43]
	v_fma_f64 v[44:45], v[48:49], v[44:45], v[46:47]
	v_cndmask_b32_e32 v46, 0, v39, vcc
	v_cmp_class_f64_e32 vcc, v[42:43], v37
	v_ldexp_f64 v[44:45], v[44:45], v46
	v_cndmask_b32_e32 v43, v45, v43, vcc
	v_cndmask_b32_e32 v42, v44, v42, vcc
	v_add_f64 v[42:43], s[18:19], v[42:43]
	v_div_scale_f64 v[44:45], s[42:43], v[42:43], v[42:43], v[40:41]
	v_rcp_f64_e32 v[46:47], v[44:45]
	v_fma_f64 v[48:49], -v[44:45], v[46:47], 1.0
	v_fma_f64 v[46:47], v[46:47], v[48:49], v[46:47]
	v_fma_f64 v[48:49], -v[44:45], v[46:47], 1.0
	v_fma_f64 v[46:47], v[46:47], v[48:49], v[46:47]
	v_div_scale_f64 v[48:49], vcc, v[40:41], v[42:43], v[40:41]
	v_mul_f64 v[50:51], v[48:49], v[46:47]
	v_fma_f64 v[44:45], -v[44:45], v[50:51], v[48:49]
	s_nop 1
	v_div_fmas_f64 v[44:45], v[44:45], v[46:47], v[50:51]
	v_div_fixup_f64 v[40:41], v[44:45], v[42:43], v[40:41]
	v_add_f64 v[23:24], v[23:24], -v[40:41]
	v_xor_b32_e32 v40, 0x80000000, v6
	v_cndmask_b32_e64 v41, v6, v40, s[0:1]
	v_mov_b32_e32 v40, v5
	v_fma_f64 v[42:43], s[14:15], v[21:22], v[40:41]
	v_cndmask_b32_e64 v41, v41, v43, s[2:3]
	v_cndmask_b32_e64 v40, v5, v42, s[2:3]
	v_fma_f64 v[17:18], v[40:41], v[40:41], v[17:18]
	v_mul_f64 v[40:41], v[25:26], v[40:41]
	v_cmp_gt_f64_e32 vcc, s[30:31], v[17:18]
	v_cndmask_b32_e32 v42, 0, v38, vcc
	v_ldexp_f64 v[42:43], v[17:18], v42
	v_rsq_f64_e32 v[44:45], v[42:43]
	v_mul_f64 v[46:47], v[42:43], v[44:45]
	v_mul_f64 v[44:45], v[44:45], 0.5
	v_fma_f64 v[48:49], -v[44:45], v[46:47], 0.5
	v_fma_f64 v[46:47], v[46:47], v[48:49], v[46:47]
	v_fma_f64 v[44:45], v[44:45], v[48:49], v[44:45]
	v_fma_f64 v[50:51], -v[46:47], v[46:47], v[42:43]
	v_fma_f64 v[46:47], v[50:51], v[44:45], v[46:47]
	v_fma_f64 v[48:49], -v[46:47], v[46:47], v[42:43]
	v_fma_f64 v[44:45], v[48:49], v[44:45], v[46:47]
	v_cndmask_b32_e32 v46, 0, v39, vcc
	v_cmp_class_f64_e32 vcc, v[42:43], v37
	v_ldexp_f64 v[44:45], v[44:45], v46
	v_cndmask_b32_e32 v43, v45, v43, vcc
	v_cndmask_b32_e32 v42, v44, v42, vcc
	v_add_f64 v[42:43], s[18:19], v[42:43]
	v_div_scale_f64 v[44:45], s[42:43], v[42:43], v[42:43], v[40:41]
	v_rcp_f64_e32 v[46:47], v[44:45]
	v_fma_f64 v[48:49], -v[44:45], v[46:47], 1.0
	v_fma_f64 v[46:47], v[46:47], v[48:49], v[46:47]
	v_fma_f64 v[48:49], -v[44:45], v[46:47], 1.0
	v_fma_f64 v[46:47], v[46:47], v[48:49], v[46:47]
	v_div_scale_f64 v[48:49], vcc, v[40:41], v[42:43], v[40:41]
	v_mul_f64 v[50:51], v[48:49], v[46:47]
	v_fma_f64 v[44:45], -v[44:45], v[50:51], v[48:49]
	s_nop 1
	v_div_fmas_f64 v[44:45], v[44:45], v[46:47], v[50:51]
	v_div_fixup_f64 v[40:41], v[44:45], v[42:43], v[40:41]
	v_add_f64 v[21:22], v[21:22], -v[40:41]
	v_xor_b32_e32 v40, 0x80000000, v4
	v_cndmask_b32_e64 v41, v4, v40, s[0:1]
	v_mov_b32_e32 v40, v3
	v_fma_f64 v[42:43], s[14:15], v[11:12], v[40:41]
	v_cndmask_b32_e64 v41, v41, v43, s[2:3]
	v_cndmask_b32_e64 v40, v3, v42, s[2:3]
	v_fma_f64 v[15:16], v[40:41], v[40:41], v[15:16]
	v_mul_f64 v[40:41], v[25:26], v[40:41]
	v_cmp_gt_f64_e32 vcc, s[30:31], v[15:16]
	v_cndmask_b32_e32 v42, 0, v38, vcc
	v_ldexp_f64 v[42:43], v[15:16], v42
	v_rsq_f64_e32 v[44:45], v[42:43]
	v_mul_f64 v[46:47], v[42:43], v[44:45]
	v_mul_f64 v[44:45], v[44:45], 0.5
	v_fma_f64 v[48:49], -v[44:45], v[46:47], 0.5
	v_fma_f64 v[46:47], v[46:47], v[48:49], v[46:47]
	v_fma_f64 v[44:45], v[44:45], v[48:49], v[44:45]
	v_fma_f64 v[50:51], -v[46:47], v[46:47], v[42:43]
	v_fma_f64 v[46:47], v[50:51], v[44:45], v[46:47]
	v_fma_f64 v[48:49], -v[46:47], v[46:47], v[42:43]
	v_fma_f64 v[44:45], v[48:49], v[44:45], v[46:47]
	v_cndmask_b32_e32 v46, 0, v39, vcc
	v_cmp_class_f64_e32 vcc, v[42:43], v37
	v_ldexp_f64 v[44:45], v[44:45], v46
	v_cndmask_b32_e32 v43, v45, v43, vcc
	v_cndmask_b32_e32 v42, v44, v42, vcc
	v_add_f64 v[42:43], s[18:19], v[42:43]
	v_div_scale_f64 v[44:45], s[42:43], v[42:43], v[42:43], v[40:41]
	v_rcp_f64_e32 v[46:47], v[44:45]
	v_fma_f64 v[48:49], -v[44:45], v[46:47], 1.0
	v_fma_f64 v[46:47], v[46:47], v[48:49], v[46:47]
	v_fma_f64 v[48:49], -v[44:45], v[46:47], 1.0
	v_fma_f64 v[46:47], v[46:47], v[48:49], v[46:47]
	v_div_scale_f64 v[48:49], vcc, v[40:41], v[42:43], v[40:41]
	v_mul_f64 v[50:51], v[48:49], v[46:47]
	v_fma_f64 v[44:45], -v[44:45], v[50:51], v[48:49]
	s_nop 1
	v_div_fmas_f64 v[44:45], v[44:45], v[46:47], v[50:51]
	s_and_b64 vcc, exec, s[6:7]
	v_div_fixup_f64 v[40:41], v[44:45], v[42:43], v[40:41]
	v_add_f64 v[11:12], v[11:12], -v[40:41]
	global_store_dwordx4 v[35:36], v[21:24], off
	global_store_dwordx4 v[35:36], v[9:12], off offset:16
	s_cbranch_vccnz .LBB0_8
; %bb.18:                               ;   in Loop: Header=BB0_9 Depth=1
	global_store_dwordx4 v[33:34], v[5:8], off
	global_store_dwordx4 v[33:34], v[1:4], off offset:16
	s_branch .LBB0_8
.LBB0_19:
	s_or_b64 exec, exec, s[26:27]
	s_mov_b64 s[2:3], 0
.LBB0_20:
	s_andn2_b64 vcc, exec, s[2:3]
	s_cbranch_vccnz .LBB0_74
; %bb.21:
	v_cmp_lt_i64_e64 s[2:3], s[22:23], 1
	s_and_b64 vcc, exec, s[2:3]
	s_cbranch_vccnz .LBB0_74
; %bb.22:
	v_mov_b32_e32 v3, 0x10000
	s_load_dword s4, s[4:5], 0xe1c
	v_mov_b32_e32 v4, 0
	v_cmp_lt_i64_e32 vcc, s[22:23], v[3:4]
	v_lshlrev_b32_e32 v1, 3, v0
	s_and_b64 s[2:3], vcc, exec
	v_cmp_lt_u64_e32 vcc, s[22:23], v[3:4]
	s_cselect_b32 s25, s23, 0
	s_cselect_b32 s24, s22, 0x10000
	s_waitcnt lgkmcnt(0)
	s_and_b32 s6, s4, 0xffff
	v_mov_b32_e32 v2, 0
	s_and_b64 s[2:3], vcc, exec
	v_mov_b32_e32 v3, s13
	v_add_co_u32_e32 v31, vcc, s12, v1
	v_addc_co_u32_e32 v32, vcc, 0, v3, vcc
	v_mad_u64_u32 v[3:4], s[4:5], s6, 24, v[1:2]
	v_mov_b32_e32 v6, s13
	s_cselect_b32 s23, s23, 0
	v_add_co_u32_e32 v33, vcc, s12, v3
	v_addc_co_u32_e32 v34, vcc, v6, v4, vcc
	v_mov_b32_e32 v6, s11
	v_add_co_u32_e32 v35, vcc, s10, v3
	s_cselect_b32 s22, s22, 0x10000
	s_lshl_b32 s7, s6, 1
	v_addc_co_u32_e32 v36, vcc, v6, v4, vcc
	s_cmp_lg_u64 s[16:17], 0
	v_mov_b32_e32 v6, s9
	v_add_co_u32_e32 v37, vcc, s8, v3
	s_cselect_b64 s[28:29], -1, 0
	v_addc_co_u32_e32 v38, vcc, v6, v4, vcc
	s_lshl_b32 s4, s6, 4
	v_add_co_u32_e32 v3, vcc, s4, v1
	v_addc_co_u32_e64 v4, s[4:5], 0, 0, vcc
	v_mov_b32_e32 v6, s13
	v_add_co_u32_e32 v39, vcc, s12, v3
	v_addc_co_u32_e32 v40, vcc, v6, v4, vcc
	v_mov_b32_e32 v6, s11
	v_add_co_u32_e32 v41, vcc, s10, v3
	v_addc_co_u32_e32 v42, vcc, v6, v4, vcc
	;; [unrolled: 3-line block ×5, first 2 shown]
	v_add_co_u32_e32 v48, vcc, s6, v0
	v_lshlrev_b32_e32 v3, 3, v48
	v_addc_co_u32_e64 v49, s[4:5], 0, 0, vcc
	v_mov_b32_e32 v4, s13
	v_add_co_u32_e32 v50, vcc, s12, v3
	v_cmp_neq_f64_e64 s[2:3], s[14:15], 0
	v_addc_co_u32_e32 v51, vcc, 0, v4, vcc
	v_mov_b32_e32 v4, s11
	v_add_co_u32_e32 v52, vcc, s10, v3
	v_addc_co_u32_e32 v53, vcc, 0, v4, vcc
	v_mov_b32_e32 v4, s9
	v_add_co_u32_e32 v54, vcc, s8, v3
	s_mul_i32 s34, s6, 3
	v_addc_co_u32_e32 v55, vcc, 0, v4, vcc
	v_add_co_u32_e32 v56, vcc, s34, v0
	s_mov_b32 s30, 0
	v_addc_co_u32_e64 v57, s[4:5], 0, 0, vcc
	v_add_co_u32_e32 v58, vcc, s7, v0
	s_mov_b64 s[26:27], 0
	s_lshl_b32 s33, s6, 2
	s_lshl_b32 s36, s6, 5
	s_brev_b32 s31, 8
	v_addc_co_u32_e64 v59, s[4:5], 0, 0, vcc
	v_mov_b32_e32 v60, 0x260
	v_mov_b32_e32 v61, 0x100
	;; [unrolled: 1-line block ×3, first 2 shown]
	s_branch .LBB0_24
.LBB0_23:                               ;   in Loop: Header=BB0_24 Depth=1
	s_or_b64 exec, exec, s[4:5]
	v_add_co_u32_e32 v31, vcc, s36, v31
	v_addc_co_u32_e32 v32, vcc, 0, v32, vcc
	v_add_co_u32_e32 v45, vcc, s36, v45
	v_addc_co_u32_e32 v46, vcc, 0, v46, vcc
	;; [unrolled: 2-line block ×10, first 2 shown]
	s_add_u32 s26, s26, s33
	v_add_co_u32_e32 v52, vcc, s36, v52
	v_mov_b32_e32 v3, s24
	s_addc_u32 s27, s27, 0
	v_addc_co_u32_e32 v53, vcc, 0, v53, vcc
	v_mov_b32_e32 v4, s25
	v_cmp_ge_i64_e32 vcc, s[26:27], v[3:4]
	v_add_co_u32_e64 v54, s[4:5], s36, v54
	v_addc_co_u32_e64 v55, s[4:5], 0, v55, s[4:5]
	s_cbranch_vccnz .LBB0_74
.LBB0_24:                               ; =>This Inner Loop Header: Depth=1
	v_mov_b32_e32 v4, s27
	v_add_co_u32_e32 v3, vcc, s26, v0
	v_addc_co_u32_e32 v4, vcc, 0, v4, vcc
	v_cmp_gt_u64_e64 s[4:5], s[22:23], v[3:4]
	v_mov_b32_e32 v23, 0
	v_mov_b32_e32 v3, 0
	v_mov_b32_e32 v17, 0
	v_mov_b32_e32 v24, 0
	v_mov_b32_e32 v4, 0
	v_mov_b32_e32 v18, 0
	s_and_saveexec_b64 s[6:7], s[4:5]
	s_cbranch_execz .LBB0_26
; %bb.25:                               ;   in Loop: Header=BB0_24 Depth=1
	v_mov_b32_e32 v3, s21
	v_add_co_u32_e32 v5, vcc, s20, v45
	v_addc_co_u32_e32 v6, vcc, v46, v3, vcc
	v_add_co_u32_e32 v7, vcc, s20, v31
	v_addc_co_u32_e32 v8, vcc, v32, v3, vcc
	global_load_dwordx2 v[17:18], v[7:8], off
	global_load_dwordx2 v[3:4], v[5:6], off
.LBB0_26:                               ;   in Loop: Header=BB0_24 Depth=1
	s_or_b64 exec, exec, s[6:7]
	s_and_saveexec_b64 s[6:7], s[4:5]
	s_cbranch_execz .LBB0_28
; %bb.27:                               ;   in Loop: Header=BB0_24 Depth=1
	v_mov_b32_e32 v6, s21
	v_add_co_u32_e32 v5, vcc, s20, v1
	v_addc_co_u32_e32 v6, vcc, v47, v6, vcc
	global_load_dwordx2 v[23:24], v[5:6], off
.LBB0_28:                               ;   in Loop: Header=BB0_24 Depth=1
	s_or_b64 exec, exec, s[6:7]
	v_mov_b32_e32 v6, s27
	v_add_co_u32_e32 v5, vcc, s26, v48
	v_addc_co_u32_e32 v6, vcc, v49, v6, vcc
	v_cmp_gt_u64_e64 s[6:7], s[22:23], v[5:6]
	v_mov_b32_e32 v27, 0
	v_mov_b32_e32 v5, 0
	v_mov_b32_e32 v15, 0
	v_mov_b32_e32 v28, 0
	v_mov_b32_e32 v6, 0
	v_mov_b32_e32 v16, 0
	s_and_saveexec_b64 s[8:9], s[6:7]
	s_cbranch_execz .LBB0_30
; %bb.29:                               ;   in Loop: Header=BB0_24 Depth=1
	v_mov_b32_e32 v5, s21
	v_add_co_u32_e32 v7, vcc, s20, v52
	v_addc_co_u32_e32 v8, vcc, v53, v5, vcc
	v_add_co_u32_e32 v9, vcc, s20, v50
	v_addc_co_u32_e32 v10, vcc, v51, v5, vcc
	global_load_dwordx2 v[15:16], v[9:10], off
	global_load_dwordx2 v[5:6], v[7:8], off
.LBB0_30:                               ;   in Loop: Header=BB0_24 Depth=1
	s_or_b64 exec, exec, s[8:9]
	s_and_saveexec_b64 s[8:9], s[6:7]
	s_cbranch_execz .LBB0_32
; %bb.31:                               ;   in Loop: Header=BB0_24 Depth=1
	v_mov_b32_e32 v8, s21
	v_add_co_u32_e32 v7, vcc, s20, v54
	v_addc_co_u32_e32 v8, vcc, v55, v8, vcc
	global_load_dwordx2 v[27:28], v[7:8], off
.LBB0_32:                               ;   in Loop: Header=BB0_24 Depth=1
	s_or_b64 exec, exec, s[8:9]
	;; [unrolled: 31-line block ×3, first 2 shown]
	v_mov_b32_e32 v10, s27
	v_add_co_u32_e32 v9, vcc, s26, v56
	v_addc_co_u32_e32 v10, vcc, v57, v10, vcc
	v_cmp_gt_u64_e64 s[10:11], s[22:23], v[9:10]
	v_mov_b32_e32 v19, 0
	v_mov_b32_e32 v9, 0
	;; [unrolled: 1-line block ×6, first 2 shown]
	s_and_saveexec_b64 s[12:13], s[10:11]
	s_cbranch_execz .LBB0_38
; %bb.37:                               ;   in Loop: Header=BB0_24 Depth=1
	v_mov_b32_e32 v12, s21
	v_add_co_u32_e32 v9, vcc, s20, v35
	v_addc_co_u32_e32 v10, vcc, v36, v12, vcc
	v_add_co_u32_e32 v11, vcc, s20, v33
	v_addc_co_u32_e32 v12, vcc, v34, v12, vcc
	global_load_dwordx2 v[11:12], v[11:12], off
	s_nop 0
	global_load_dwordx2 v[9:10], v[9:10], off
.LBB0_38:                               ;   in Loop: Header=BB0_24 Depth=1
	s_or_b64 exec, exec, s[12:13]
	s_and_saveexec_b64 s[12:13], s[10:11]
	s_cbranch_execz .LBB0_40
; %bb.39:                               ;   in Loop: Header=BB0_24 Depth=1
	v_mov_b32_e32 v20, s21
	v_add_co_u32_e32 v19, vcc, s20, v37
	v_addc_co_u32_e32 v20, vcc, v38, v20, vcc
	global_load_dwordx2 v[19:20], v[19:20], off
.LBB0_40:                               ;   in Loop: Header=BB0_24 Depth=1
	s_or_b64 exec, exec, s[12:13]
	v_cndmask_b32_e64 v29, 0, 1, s[28:29]
	v_cmp_ne_u32_e64 s[12:13], 1, v29
	s_andn2_b64 vcc, exec, s[28:29]
	s_cbranch_vccnz .LBB0_42
; %bb.41:                               ;   in Loop: Header=BB0_24 Depth=1
	global_load_dword v29, v2, s[16:17]
	s_waitcnt vmcnt(0)
	v_cvt_f64_f32_e32 v[29:30], v29
	v_div_scale_f64 v[63:64], s[34:35], v[29:30], v[29:30], v[3:4]
	v_div_scale_f64 v[69:70], vcc, v[3:4], v[29:30], v[3:4]
	v_rcp_f64_e32 v[65:66], v[63:64]
	v_fma_f64 v[67:68], -v[63:64], v[65:66], 1.0
	v_fma_f64 v[65:66], v[65:66], v[67:68], v[65:66]
	v_fma_f64 v[67:68], -v[63:64], v[65:66], 1.0
	v_fma_f64 v[65:66], v[65:66], v[67:68], v[65:66]
	v_mul_f64 v[67:68], v[69:70], v[65:66]
	v_fma_f64 v[63:64], -v[63:64], v[67:68], v[69:70]
	v_div_fmas_f64 v[63:64], v[63:64], v[65:66], v[67:68]
	v_div_fixup_f64 v[3:4], v[63:64], v[29:30], v[3:4]
.LBB0_42:                               ;   in Loop: Header=BB0_24 Depth=1
	s_and_b64 vcc, exec, s[12:13]
	s_cbranch_vccnz .LBB0_44
; %bb.43:                               ;   in Loop: Header=BB0_24 Depth=1
	global_load_dword v29, v2, s[16:17]
	s_waitcnt vmcnt(0)
	v_cvt_f64_f32_e32 v[29:30], v29
	v_div_scale_f64 v[63:64], s[34:35], v[29:30], v[29:30], v[5:6]
	v_div_scale_f64 v[69:70], vcc, v[5:6], v[29:30], v[5:6]
	v_rcp_f64_e32 v[65:66], v[63:64]
	v_fma_f64 v[67:68], -v[63:64], v[65:66], 1.0
	v_fma_f64 v[65:66], v[65:66], v[67:68], v[65:66]
	v_fma_f64 v[67:68], -v[63:64], v[65:66], 1.0
	v_fma_f64 v[65:66], v[65:66], v[67:68], v[65:66]
	v_mul_f64 v[67:68], v[69:70], v[65:66]
	v_fma_f64 v[63:64], -v[63:64], v[67:68], v[69:70]
	v_div_fmas_f64 v[63:64], v[63:64], v[65:66], v[67:68]
	v_div_fixup_f64 v[5:6], v[63:64], v[29:30], v[5:6]
.LBB0_44:                               ;   in Loop: Header=BB0_24 Depth=1
	s_and_b64 vcc, exec, s[12:13]
	;; [unrolled: 18-line block ×3, first 2 shown]
	s_cbranch_vccnz .LBB0_48
; %bb.47:                               ;   in Loop: Header=BB0_24 Depth=1
	global_load_dword v29, v2, s[16:17]
	s_waitcnt vmcnt(0)
	v_cvt_f64_f32_e32 v[29:30], v29
	v_div_scale_f64 v[63:64], s[34:35], v[29:30], v[29:30], v[9:10]
	v_div_scale_f64 v[69:70], vcc, v[9:10], v[29:30], v[9:10]
	v_rcp_f64_e32 v[65:66], v[63:64]
	v_fma_f64 v[67:68], -v[63:64], v[65:66], 1.0
	v_fma_f64 v[65:66], v[65:66], v[67:68], v[65:66]
	v_fma_f64 v[67:68], -v[63:64], v[65:66], 1.0
	v_fma_f64 v[65:66], v[65:66], v[67:68], v[65:66]
	v_mul_f64 v[67:68], v[69:70], v[65:66]
	v_fma_f64 v[63:64], -v[63:64], v[67:68], v[69:70]
	v_div_fmas_f64 v[63:64], v[63:64], v[65:66], v[67:68]
	v_div_fixup_f64 v[9:10], v[63:64], v[29:30], v[9:10]
.LBB0_48:                               ;   in Loop: Header=BB0_24 Depth=1
	s_waitcnt vmcnt(0)
	v_xor_b32_e32 v29, 0x80000000, v4
	v_cndmask_b32_e64 v30, v4, v29, s[0:1]
	v_mov_b32_e32 v29, v3
	v_fma_f64 v[63:64], s[14:15], v[17:18], v[29:30]
	v_cndmask_b32_e64 v30, v30, v64, s[2:3]
	v_cndmask_b32_e64 v29, v3, v63, s[2:3]
	v_fma_f64 v[23:24], v[29:30], v[29:30], v[23:24]
	s_and_saveexec_b64 s[34:35], s[4:5]
	s_cbranch_execz .LBB0_50
; %bb.49:                               ;   in Loop: Header=BB0_24 Depth=1
	v_cmp_gt_f64_e32 vcc, s[30:31], v[23:24]
	v_mul_f64 v[29:30], v[25:26], v[29:30]
	v_cndmask_b32_e32 v63, 0, v61, vcc
	v_ldexp_f64 v[63:64], v[23:24], v63
	v_rsq_f64_e32 v[65:66], v[63:64]
	v_mul_f64 v[67:68], v[63:64], v[65:66]
	v_mul_f64 v[65:66], v[65:66], 0.5
	v_fma_f64 v[69:70], -v[65:66], v[67:68], 0.5
	v_fma_f64 v[67:68], v[67:68], v[69:70], v[67:68]
	v_fma_f64 v[65:66], v[65:66], v[69:70], v[65:66]
	v_fma_f64 v[69:70], -v[67:68], v[67:68], v[63:64]
	v_fma_f64 v[67:68], v[69:70], v[65:66], v[67:68]
	v_fma_f64 v[69:70], -v[67:68], v[67:68], v[63:64]
	v_fma_f64 v[65:66], v[69:70], v[65:66], v[67:68]
	v_cndmask_b32_e32 v67, 0, v62, vcc
	v_cmp_class_f64_e32 vcc, v[63:64], v60
	v_ldexp_f64 v[65:66], v[65:66], v67
	v_cndmask_b32_e32 v64, v66, v64, vcc
	v_cndmask_b32_e32 v63, v65, v63, vcc
	v_add_f64 v[63:64], s[18:19], v[63:64]
	v_div_scale_f64 v[65:66], s[38:39], v[63:64], v[63:64], v[29:30]
	v_div_scale_f64 v[71:72], vcc, v[29:30], v[63:64], v[29:30]
	v_rcp_f64_e32 v[67:68], v[65:66]
	v_fma_f64 v[69:70], -v[65:66], v[67:68], 1.0
	v_fma_f64 v[67:68], v[67:68], v[69:70], v[67:68]
	v_fma_f64 v[69:70], -v[65:66], v[67:68], 1.0
	v_fma_f64 v[67:68], v[67:68], v[69:70], v[67:68]
	v_mul_f64 v[69:70], v[71:72], v[67:68]
	v_fma_f64 v[65:66], -v[65:66], v[69:70], v[71:72]
	v_div_fmas_f64 v[65:66], v[65:66], v[67:68], v[69:70]
	v_div_fixup_f64 v[29:30], v[65:66], v[63:64], v[29:30]
	v_add_f64 v[17:18], v[17:18], -v[29:30]
	v_mov_b32_e32 v30, s21
	v_add_co_u32_e32 v29, vcc, s20, v31
	v_addc_co_u32_e32 v30, vcc, v32, v30, vcc
	global_store_dwordx2 v[29:30], v[17:18], off
.LBB0_50:                               ;   in Loop: Header=BB0_24 Depth=1
	s_or_b64 exec, exec, s[34:35]
	v_xor_b32_e32 v17, 0x80000000, v6
	v_cndmask_b32_e64 v18, v6, v17, s[0:1]
	v_mov_b32_e32 v17, v5
	v_fma_f64 v[29:30], s[14:15], v[15:16], v[17:18]
	v_cndmask_b32_e64 v30, v18, v30, s[2:3]
	v_cndmask_b32_e64 v29, v5, v29, s[2:3]
	v_fma_f64 v[17:18], v[29:30], v[29:30], v[27:28]
	s_and_saveexec_b64 s[34:35], s[6:7]
	s_cbranch_execz .LBB0_52
; %bb.51:                               ;   in Loop: Header=BB0_24 Depth=1
	v_cmp_gt_f64_e32 vcc, s[30:31], v[17:18]
	v_mul_f64 v[29:30], v[25:26], v[29:30]
	v_cndmask_b32_e32 v27, 0, v61, vcc
	v_ldexp_f64 v[27:28], v[17:18], v27
	v_rsq_f64_e32 v[63:64], v[27:28]
	v_mul_f64 v[65:66], v[27:28], v[63:64]
	v_mul_f64 v[63:64], v[63:64], 0.5
	v_fma_f64 v[67:68], -v[63:64], v[65:66], 0.5
	v_fma_f64 v[65:66], v[65:66], v[67:68], v[65:66]
	v_fma_f64 v[63:64], v[63:64], v[67:68], v[63:64]
	v_fma_f64 v[67:68], -v[65:66], v[65:66], v[27:28]
	v_fma_f64 v[65:66], v[67:68], v[63:64], v[65:66]
	v_fma_f64 v[67:68], -v[65:66], v[65:66], v[27:28]
	v_fma_f64 v[63:64], v[67:68], v[63:64], v[65:66]
	v_cndmask_b32_e32 v65, 0, v62, vcc
	v_cmp_class_f64_e32 vcc, v[27:28], v60
	v_ldexp_f64 v[63:64], v[63:64], v65
	v_cndmask_b32_e32 v28, v64, v28, vcc
	v_cndmask_b32_e32 v27, v63, v27, vcc
	v_add_f64 v[27:28], s[18:19], v[27:28]
	v_div_scale_f64 v[63:64], s[38:39], v[27:28], v[27:28], v[29:30]
	v_div_scale_f64 v[69:70], vcc, v[29:30], v[27:28], v[29:30]
	v_rcp_f64_e32 v[65:66], v[63:64]
	v_fma_f64 v[67:68], -v[63:64], v[65:66], 1.0
	v_fma_f64 v[65:66], v[65:66], v[67:68], v[65:66]
	v_fma_f64 v[67:68], -v[63:64], v[65:66], 1.0
	v_fma_f64 v[65:66], v[65:66], v[67:68], v[65:66]
	v_mul_f64 v[67:68], v[69:70], v[65:66]
	v_fma_f64 v[63:64], -v[63:64], v[67:68], v[69:70]
	v_div_fmas_f64 v[63:64], v[63:64], v[65:66], v[67:68]
	v_div_fixup_f64 v[27:28], v[63:64], v[27:28], v[29:30]
	v_add_f64 v[15:16], v[15:16], -v[27:28]
	v_mov_b32_e32 v28, s21
	v_add_co_u32_e32 v27, vcc, s20, v50
	v_addc_co_u32_e32 v28, vcc, v51, v28, vcc
	global_store_dwordx2 v[27:28], v[15:16], off
.LBB0_52:                               ;   in Loop: Header=BB0_24 Depth=1
	s_or_b64 exec, exec, s[34:35]
	;; [unrolled: 48-line block ×4, first 2 shown]
	s_and_b64 vcc, exec, s[12:13]
	s_cbranch_vccnz .LBB0_63
; %bb.57:                               ;   in Loop: Header=BB0_24 Depth=1
	s_and_saveexec_b64 s[12:13], s[4:5]
	s_cbranch_execnz .LBB0_71
; %bb.58:                               ;   in Loop: Header=BB0_24 Depth=1
	s_or_b64 exec, exec, s[12:13]
	s_and_saveexec_b64 s[12:13], s[6:7]
	s_cbranch_execnz .LBB0_72
.LBB0_59:                               ;   in Loop: Header=BB0_24 Depth=1
	s_or_b64 exec, exec, s[12:13]
	s_and_saveexec_b64 s[12:13], s[8:9]
	s_cbranch_execnz .LBB0_73
.LBB0_60:                               ;   in Loop: Header=BB0_24 Depth=1
	s_or_b64 exec, exec, s[12:13]
	s_and_saveexec_b64 s[12:13], s[10:11]
	s_cbranch_execz .LBB0_62
.LBB0_61:                               ;   in Loop: Header=BB0_24 Depth=1
	v_mov_b32_e32 v4, s21
	v_add_co_u32_e32 v3, vcc, s20, v35
	v_addc_co_u32_e32 v4, vcc, v36, v4, vcc
	global_store_dwordx2 v[3:4], v[9:10], off
.LBB0_62:                               ;   in Loop: Header=BB0_24 Depth=1
	s_or_b64 exec, exec, s[12:13]
.LBB0_63:                               ;   in Loop: Header=BB0_24 Depth=1
	s_and_saveexec_b64 s[12:13], s[4:5]
	s_cbranch_execnz .LBB0_67
; %bb.64:                               ;   in Loop: Header=BB0_24 Depth=1
	s_or_b64 exec, exec, s[12:13]
	s_and_saveexec_b64 s[4:5], s[6:7]
	s_cbranch_execnz .LBB0_68
.LBB0_65:                               ;   in Loop: Header=BB0_24 Depth=1
	s_or_b64 exec, exec, s[4:5]
	s_and_saveexec_b64 s[4:5], s[8:9]
	s_cbranch_execnz .LBB0_69
.LBB0_66:                               ;   in Loop: Header=BB0_24 Depth=1
	s_or_b64 exec, exec, s[4:5]
	s_and_saveexec_b64 s[4:5], s[10:11]
	s_cbranch_execz .LBB0_23
	s_branch .LBB0_70
.LBB0_67:                               ;   in Loop: Header=BB0_24 Depth=1
	v_mov_b32_e32 v4, s21
	v_add_co_u32_e32 v3, vcc, s20, v1
	v_addc_co_u32_e32 v4, vcc, v47, v4, vcc
	global_store_dwordx2 v[3:4], v[23:24], off
	s_or_b64 exec, exec, s[12:13]
	s_and_saveexec_b64 s[4:5], s[6:7]
	s_cbranch_execz .LBB0_65
.LBB0_68:                               ;   in Loop: Header=BB0_24 Depth=1
	v_mov_b32_e32 v4, s21
	v_add_co_u32_e32 v3, vcc, s20, v54
	v_addc_co_u32_e32 v4, vcc, v55, v4, vcc
	global_store_dwordx2 v[3:4], v[17:18], off
	s_or_b64 exec, exec, s[4:5]
	s_and_saveexec_b64 s[4:5], s[8:9]
	s_cbranch_execz .LBB0_66
.LBB0_69:                               ;   in Loop: Header=BB0_24 Depth=1
	v_mov_b32_e32 v4, s21
	v_add_co_u32_e32 v3, vcc, s20, v43
	v_addc_co_u32_e32 v4, vcc, v44, v4, vcc
	global_store_dwordx2 v[3:4], v[15:16], off
	s_or_b64 exec, exec, s[4:5]
	s_and_saveexec_b64 s[4:5], s[10:11]
	s_cbranch_execz .LBB0_23
.LBB0_70:                               ;   in Loop: Header=BB0_24 Depth=1
	v_mov_b32_e32 v4, s21
	v_add_co_u32_e32 v3, vcc, s20, v37
	v_addc_co_u32_e32 v4, vcc, v38, v4, vcc
	global_store_dwordx2 v[3:4], v[13:14], off
	s_branch .LBB0_23
.LBB0_71:                               ;   in Loop: Header=BB0_24 Depth=1
	v_mov_b32_e32 v12, s21
	v_add_co_u32_e32 v11, vcc, s20, v45
	v_addc_co_u32_e32 v12, vcc, v46, v12, vcc
	global_store_dwordx2 v[11:12], v[3:4], off
	s_or_b64 exec, exec, s[12:13]
	s_and_saveexec_b64 s[12:13], s[6:7]
	s_cbranch_execz .LBB0_59
.LBB0_72:                               ;   in Loop: Header=BB0_24 Depth=1
	v_mov_b32_e32 v4, s21
	v_add_co_u32_e32 v3, vcc, s20, v52
	v_addc_co_u32_e32 v4, vcc, v53, v4, vcc
	global_store_dwordx2 v[3:4], v[5:6], off
	s_or_b64 exec, exec, s[12:13]
	s_and_saveexec_b64 s[12:13], s[8:9]
	s_cbranch_execz .LBB0_60
.LBB0_73:                               ;   in Loop: Header=BB0_24 Depth=1
	v_mov_b32_e32 v4, s21
	v_add_co_u32_e32 v3, vcc, s20, v41
	v_addc_co_u32_e32 v4, vcc, v42, v4, vcc
	global_store_dwordx2 v[3:4], v[7:8], off
	s_or_b64 exec, exec, s[12:13]
	s_and_saveexec_b64 s[12:13], s[10:11]
	s_cbranch_execnz .LBB0_61
	s_branch .LBB0_62
.LBB0_74:
	s_endpgm
	.section	.rodata,"a",@progbits
	.p2align	6, 0x0
	.amdhsa_kernel _ZN2at6native12_GLOBAL__N_125multi_tensor_apply_kernelINS1_32FusedOptimizerTensorListMetadataILi3EEENS1_23FusedAdagradMathFunctorIdEEJPKfddddbS8_S8_EEEvT_T0_DpT1_
		.amdhsa_group_segment_fixed_size 0
		.amdhsa_private_segment_fixed_size 0
		.amdhsa_kernarg_size 3856
		.amdhsa_user_sgpr_count 6
		.amdhsa_user_sgpr_private_segment_buffer 1
		.amdhsa_user_sgpr_dispatch_ptr 0
		.amdhsa_user_sgpr_queue_ptr 0
		.amdhsa_user_sgpr_kernarg_segment_ptr 1
		.amdhsa_user_sgpr_dispatch_id 0
		.amdhsa_user_sgpr_flat_scratch_init 0
		.amdhsa_user_sgpr_private_segment_size 0
		.amdhsa_uses_dynamic_stack 0
		.amdhsa_system_sgpr_private_segment_wavefront_offset 0
		.amdhsa_system_sgpr_workgroup_id_x 1
		.amdhsa_system_sgpr_workgroup_id_y 0
		.amdhsa_system_sgpr_workgroup_id_z 0
		.amdhsa_system_sgpr_workgroup_info 0
		.amdhsa_system_vgpr_workitem_id 0
		.amdhsa_next_free_vgpr 73
		.amdhsa_next_free_sgpr 44
		.amdhsa_reserve_vcc 1
		.amdhsa_reserve_flat_scratch 0
		.amdhsa_float_round_mode_32 0
		.amdhsa_float_round_mode_16_64 0
		.amdhsa_float_denorm_mode_32 3
		.amdhsa_float_denorm_mode_16_64 3
		.amdhsa_dx10_clamp 1
		.amdhsa_ieee_mode 1
		.amdhsa_fp16_overflow 0
		.amdhsa_exception_fp_ieee_invalid_op 0
		.amdhsa_exception_fp_denorm_src 0
		.amdhsa_exception_fp_ieee_div_zero 0
		.amdhsa_exception_fp_ieee_overflow 0
		.amdhsa_exception_fp_ieee_underflow 0
		.amdhsa_exception_fp_ieee_inexact 0
		.amdhsa_exception_int_div_zero 0
	.end_amdhsa_kernel
	.section	.text._ZN2at6native12_GLOBAL__N_125multi_tensor_apply_kernelINS1_32FusedOptimizerTensorListMetadataILi3EEENS1_23FusedAdagradMathFunctorIdEEJPKfddddbS8_S8_EEEvT_T0_DpT1_,"axG",@progbits,_ZN2at6native12_GLOBAL__N_125multi_tensor_apply_kernelINS1_32FusedOptimizerTensorListMetadataILi3EEENS1_23FusedAdagradMathFunctorIdEEJPKfddddbS8_S8_EEEvT_T0_DpT1_,comdat
.Lfunc_end0:
	.size	_ZN2at6native12_GLOBAL__N_125multi_tensor_apply_kernelINS1_32FusedOptimizerTensorListMetadataILi3EEENS1_23FusedAdagradMathFunctorIdEEJPKfddddbS8_S8_EEEvT_T0_DpT1_, .Lfunc_end0-_ZN2at6native12_GLOBAL__N_125multi_tensor_apply_kernelINS1_32FusedOptimizerTensorListMetadataILi3EEENS1_23FusedAdagradMathFunctorIdEEJPKfddddbS8_S8_EEEvT_T0_DpT1_
                                        ; -- End function
	.set _ZN2at6native12_GLOBAL__N_125multi_tensor_apply_kernelINS1_32FusedOptimizerTensorListMetadataILi3EEENS1_23FusedAdagradMathFunctorIdEEJPKfddddbS8_S8_EEEvT_T0_DpT1_.num_vgpr, 73
	.set _ZN2at6native12_GLOBAL__N_125multi_tensor_apply_kernelINS1_32FusedOptimizerTensorListMetadataILi3EEENS1_23FusedAdagradMathFunctorIdEEJPKfddddbS8_S8_EEEvT_T0_DpT1_.num_agpr, 0
	.set _ZN2at6native12_GLOBAL__N_125multi_tensor_apply_kernelINS1_32FusedOptimizerTensorListMetadataILi3EEENS1_23FusedAdagradMathFunctorIdEEJPKfddddbS8_S8_EEEvT_T0_DpT1_.numbered_sgpr, 44
	.set _ZN2at6native12_GLOBAL__N_125multi_tensor_apply_kernelINS1_32FusedOptimizerTensorListMetadataILi3EEENS1_23FusedAdagradMathFunctorIdEEJPKfddddbS8_S8_EEEvT_T0_DpT1_.num_named_barrier, 0
	.set _ZN2at6native12_GLOBAL__N_125multi_tensor_apply_kernelINS1_32FusedOptimizerTensorListMetadataILi3EEENS1_23FusedAdagradMathFunctorIdEEJPKfddddbS8_S8_EEEvT_T0_DpT1_.private_seg_size, 0
	.set _ZN2at6native12_GLOBAL__N_125multi_tensor_apply_kernelINS1_32FusedOptimizerTensorListMetadataILi3EEENS1_23FusedAdagradMathFunctorIdEEJPKfddddbS8_S8_EEEvT_T0_DpT1_.uses_vcc, 1
	.set _ZN2at6native12_GLOBAL__N_125multi_tensor_apply_kernelINS1_32FusedOptimizerTensorListMetadataILi3EEENS1_23FusedAdagradMathFunctorIdEEJPKfddddbS8_S8_EEEvT_T0_DpT1_.uses_flat_scratch, 0
	.set _ZN2at6native12_GLOBAL__N_125multi_tensor_apply_kernelINS1_32FusedOptimizerTensorListMetadataILi3EEENS1_23FusedAdagradMathFunctorIdEEJPKfddddbS8_S8_EEEvT_T0_DpT1_.has_dyn_sized_stack, 0
	.set _ZN2at6native12_GLOBAL__N_125multi_tensor_apply_kernelINS1_32FusedOptimizerTensorListMetadataILi3EEENS1_23FusedAdagradMathFunctorIdEEJPKfddddbS8_S8_EEEvT_T0_DpT1_.has_recursion, 0
	.set _ZN2at6native12_GLOBAL__N_125multi_tensor_apply_kernelINS1_32FusedOptimizerTensorListMetadataILi3EEENS1_23FusedAdagradMathFunctorIdEEJPKfddddbS8_S8_EEEvT_T0_DpT1_.has_indirect_call, 0
	.section	.AMDGPU.csdata,"",@progbits
; Kernel info:
; codeLenInByte = 5444
; TotalNumSgprs: 48
; NumVgprs: 73
; ScratchSize: 0
; MemoryBound: 1
; FloatMode: 240
; IeeeMode: 1
; LDSByteSize: 0 bytes/workgroup (compile time only)
; SGPRBlocks: 5
; VGPRBlocks: 18
; NumSGPRsForWavesPerEU: 48
; NumVGPRsForWavesPerEU: 73
; Occupancy: 3
; WaveLimiterHint : 0
; COMPUTE_PGM_RSRC2:SCRATCH_EN: 0
; COMPUTE_PGM_RSRC2:USER_SGPR: 6
; COMPUTE_PGM_RSRC2:TRAP_HANDLER: 0
; COMPUTE_PGM_RSRC2:TGID_X_EN: 1
; COMPUTE_PGM_RSRC2:TGID_Y_EN: 0
; COMPUTE_PGM_RSRC2:TGID_Z_EN: 0
; COMPUTE_PGM_RSRC2:TIDIG_COMP_CNT: 0
	.section	.text._ZN2at6native12_GLOBAL__N_125multi_tensor_apply_kernelINS1_32FusedOptimizerTensorListMetadataILi3EEENS1_23FusedAdagradMathFunctorIfEEJPKfddddbS8_S8_EEEvT_T0_DpT1_,"axG",@progbits,_ZN2at6native12_GLOBAL__N_125multi_tensor_apply_kernelINS1_32FusedOptimizerTensorListMetadataILi3EEENS1_23FusedAdagradMathFunctorIfEEJPKfddddbS8_S8_EEEvT_T0_DpT1_,comdat
	.globl	_ZN2at6native12_GLOBAL__N_125multi_tensor_apply_kernelINS1_32FusedOptimizerTensorListMetadataILi3EEENS1_23FusedAdagradMathFunctorIfEEJPKfddddbS8_S8_EEEvT_T0_DpT1_ ; -- Begin function _ZN2at6native12_GLOBAL__N_125multi_tensor_apply_kernelINS1_32FusedOptimizerTensorListMetadataILi3EEENS1_23FusedAdagradMathFunctorIfEEJPKfddddbS8_S8_EEEvT_T0_DpT1_
	.p2align	8
	.type	_ZN2at6native12_GLOBAL__N_125multi_tensor_apply_kernelINS1_32FusedOptimizerTensorListMetadataILi3EEENS1_23FusedAdagradMathFunctorIfEEJPKfddddbS8_S8_EEEvT_T0_DpT1_,@function
_ZN2at6native12_GLOBAL__N_125multi_tensor_apply_kernelINS1_32FusedOptimizerTensorListMetadataILi3EEENS1_23FusedAdagradMathFunctorIfEEJPKfddddbS8_S8_EEEvT_T0_DpT1_: ; @_ZN2at6native12_GLOBAL__N_125multi_tensor_apply_kernelINS1_32FusedOptimizerTensorListMetadataILi3EEENS1_23FusedAdagradMathFunctorIfEEJPKfddddbS8_S8_EEEvT_T0_DpT1_
; %bb.0:
	v_mov_b32_e32 v1, s6
	global_load_ubyte v1, v1, s[4:5] offset:1920
	s_load_dwordx8 s[8:15], s[4:5], 0xdd0
	s_add_u32 s0, s4, s6
	s_mul_hi_u32 s1, s6, 3
	s_mul_i32 s6, s6, 3
	s_addc_u32 s2, s5, 0
	s_add_u32 s0, s0, s6
	s_addc_u32 s1, s2, s1
	s_waitcnt lgkmcnt(0)
	s_cmp_eq_u64 s[8:9], 0
	s_waitcnt vmcnt(0)
	v_readfirstlane_b32 s6, v1
	v_mov_b32_e32 v1, s10
	v_mov_b32_e32 v2, s11
	s_cbranch_scc1 .LBB1_2
; %bb.1:
	s_load_dword s2, s[8:9], 0x0
	s_waitcnt lgkmcnt(0)
	v_cvt_f64_f32_e32 v[1:2], s2
.LBB1_2:
	s_load_dwordx4 s[16:19], s[4:5], 0xe00
	s_waitcnt lgkmcnt(0)
	s_cmp_eq_u64 s[18:19], 0
	s_cselect_b64 s[2:3], -1, 0
	s_and_b64 vcc, exec, s[2:3]
	s_cbranch_vccnz .LBB1_4
; %bb.3:
	s_load_dword s2, s[18:19], 0x0
	s_waitcnt lgkmcnt(0)
	v_cmp_neq_f32_e64 s[2:3], s2, 1.0
.LBB1_4:
	s_andn2_b64 vcc, exec, s[2:3]
	s_cbranch_vccnz .LBB1_74
; %bb.5:
	s_load_dword s2, s[4:5], 0xdf8
	s_waitcnt lgkmcnt(0)
	s_bitcmp1_b32 s2, 0
	s_cselect_b64 s[18:19], -1, 0
	s_and_b32 s2, s6, 0xff
	s_lshl_b32 s6, s2, 3
	s_load_dwordx2 s[2:3], s[4:5], s6 offset:0x600
	s_waitcnt lgkmcnt(0)
	s_load_dword s2, s[2:3], 0x0
	s_waitcnt lgkmcnt(0)
	v_add_f32_e64 v3, s2, -1.0
	v_cvt_f64_f32_e32 v[3:4], v3
	v_fma_f64 v[3:4], s[12:13], v[3:4], 1.0
	v_div_scale_f64 v[5:6], s[2:3], v[3:4], v[3:4], v[1:2]
	s_load_dword s2, s[0:1], 0x8c0
	s_load_dwordx2 s[20:21], s[4:5], 0xdf0
	s_load_dwordx2 s[10:11], s[4:5], s6 offset:0x480
	s_load_dwordx2 s[36:37], s[4:5], s6 offset:0x0
	;; [unrolled: 1-line block ×4, first 2 shown]
	s_mov_b32 s1, 0
	s_mov_b32 s7, s1
	s_waitcnt lgkmcnt(0)
	s_ashr_i32 s3, s2, 31
	s_lshl_b64 s[8:9], s[2:3], 16
	s_sub_u32 s26, s10, s8
	s_subb_u32 s27, s11, s9
	s_lshl_b64 s[22:23], s[2:3], 18
	s_add_u32 s33, s36, s22
	s_addc_u32 s38, s37, s23
	s_and_b32 s0, s33, 15
	s_add_u32 s39, s34, s22
	s_addc_u32 s40, s35, s23
	v_rcp_f64_e32 v[7:8], v[5:6]
	s_add_u32 s41, s12, s22
	s_addc_u32 s42, s13, s23
	s_or_b32 s2, s41, s39
	s_and_b32 s2, s2, 15
	s_cmp_lg_u32 s2, 0
	s_cselect_b64 s[2:3], -1, 0
	s_and_b32 s6, s10, 3
	s_or_b64 s[0:1], s[0:1], s[6:7]
	s_cmp_lg_u64 s[0:1], 0
	s_cselect_b64 s[0:1], -1, 0
	s_or_b64 s[0:1], s[2:3], s[0:1]
	v_fma_f64 v[9:10], -v[5:6], v[7:8], 1.0
	v_fma_f64 v[7:8], v[7:8], v[9:10], v[7:8]
	v_div_scale_f64 v[9:10], vcc, v[1:2], v[3:4], v[1:2]
	v_fma_f64 v[11:12], -v[5:6], v[7:8], 1.0
	v_fma_f64 v[7:8], v[7:8], v[11:12], v[7:8]
	v_mul_f64 v[11:12], v[9:10], v[7:8]
	v_fma_f64 v[5:6], -v[5:6], v[11:12], v[9:10]
	v_div_fmas_f64 v[5:6], v[5:6], v[7:8], v[11:12]
	s_andn2_b64 vcc, exec, s[0:1]
	s_mov_b64 s[0:1], -1
	v_div_fixup_f64 v[13:14], v[5:6], v[3:4], v[1:2]
	s_cbranch_vccz .LBB1_20
; %bb.6:
	v_mov_b32_e32 v1, 0x10000
	v_mov_b32_e32 v2, 0
	v_cmp_lt_i64_e32 vcc, s[26:27], v[1:2]
	v_mov_b32_e32 v16, 0
	s_and_b64 s[0:1], vcc, exec
	s_cselect_b32 s25, s27, 0
	s_cselect_b32 s24, s26, 0x10000
	v_lshlrev_b32_e32 v15, 2, v0
	v_cmp_gt_i64_e32 vcc, s[24:25], v[15:16]
	s_and_saveexec_b64 s[28:29], vcc
	s_cbranch_execz .LBB1_19
; %bb.7:
	v_cmp_neq_f64_e64 s[0:1], s[14:15], 0
	s_load_dword s6, s[4:5], 0xe1c
	s_cmp_lg_u64 s[16:17], 0
	v_mov_b32_e32 v1, v16
	s_cselect_b64 s[2:3], -1, 0
	v_cndmask_b32_e64 v2, 0, 1, s[2:3]
	s_waitcnt lgkmcnt(0)
	s_and_b32 s43, s6, 0xffff
	v_mov_b32_e32 v18, v1
	s_mov_b64 s[30:31], 0
	v_lshlrev_b32_e32 v15, 4, v0
	s_lshl_b32 s44, s43, 4
	v_cmp_ne_u32_e64 s[2:3], 1, v2
	s_mov_b32 s45, 0xf800000
	v_mov_b32_e32 v27, 0x260
	v_mov_b32_e32 v17, v0
	s_branch .LBB1_9
.LBB1_8:                                ;   in Loop: Header=BB1_9 Depth=1
	v_add_co_u32_e32 v17, vcc, s43, v17
	s_add_u32 s41, s41, s44
	v_addc_co_u32_e32 v18, vcc, 0, v18, vcc
	s_addc_u32 s42, s42, 0
	v_lshlrev_b64 v[5:6], 2, v[17:18]
	s_add_u32 s33, s33, s44
	s_addc_u32 s38, s38, 0
	s_add_u32 s39, s39, s44
	v_cmp_le_i64_e32 vcc, s[24:25], v[5:6]
	s_addc_u32 s40, s40, 0
	s_or_b64 s[30:31], vcc, s[30:31]
	global_store_dwordx4 v[19:20], v[1:4], off
	s_andn2_b64 exec, exec, s[30:31]
	s_cbranch_execz .LBB1_19
.LBB1_9:                                ; =>This Inner Loop Header: Depth=1
	v_mov_b32_e32 v1, s38
	v_add_co_u32_e32 v23, vcc, s33, v15
	v_addc_co_u32_e32 v24, vcc, 0, v1, vcc
	v_mov_b32_e32 v1, s40
	v_add_co_u32_e32 v21, vcc, s39, v15
	v_addc_co_u32_e32 v22, vcc, 0, v1, vcc
	;; [unrolled: 3-line block ×3, first 2 shown]
	global_load_dwordx4 v[9:12], v[23:24], off
	global_load_dwordx4 v[5:8], v[21:22], off
	;; [unrolled: 1-line block ×3, first 2 shown]
	s_and_b64 vcc, exec, s[2:3]
	s_cbranch_vccnz .LBB1_11
; %bb.10:                               ;   in Loop: Header=BB1_9 Depth=1
	global_load_dword v25, v16, s[16:17]
	s_waitcnt vmcnt(0)
	v_div_scale_f32 v26, s[6:7], v25, v25, v5
	v_div_scale_f32 v28, vcc, v5, v25, v5
	v_rcp_f32_e32 v29, v26
	v_fma_f32 v30, -v26, v29, 1.0
	v_fmac_f32_e32 v29, v30, v29
	v_mul_f32_e32 v30, v28, v29
	v_fma_f32 v31, -v26, v30, v28
	v_fmac_f32_e32 v30, v31, v29
	v_fma_f32 v26, -v26, v30, v28
	v_div_fmas_f32 v26, v26, v29, v30
	v_div_fixup_f32 v5, v26, v25, v5
.LBB1_11:                               ;   in Loop: Header=BB1_9 Depth=1
	s_and_b64 vcc, exec, s[2:3]
	s_cbranch_vccnz .LBB1_13
; %bb.12:                               ;   in Loop: Header=BB1_9 Depth=1
	global_load_dword v25, v16, s[16:17]
	s_waitcnt vmcnt(0)
	v_div_scale_f32 v26, s[6:7], v25, v25, v6
	v_div_scale_f32 v28, vcc, v6, v25, v6
	v_rcp_f32_e32 v29, v26
	v_fma_f32 v30, -v26, v29, 1.0
	v_fmac_f32_e32 v29, v30, v29
	v_mul_f32_e32 v30, v28, v29
	v_fma_f32 v31, -v26, v30, v28
	v_fmac_f32_e32 v30, v31, v29
	v_fma_f32 v26, -v26, v30, v28
	v_div_fmas_f32 v26, v26, v29, v30
	v_div_fixup_f32 v6, v26, v25, v6
.LBB1_13:                               ;   in Loop: Header=BB1_9 Depth=1
	;; [unrolled: 17-line block ×4, first 2 shown]
	s_waitcnt vmcnt(1)
	v_cndmask_b32_e64 v32, v7, -v7, s[18:19]
	v_cvt_f64_f32_e32 v[25:26], v11
	v_cvt_f64_f32_e32 v[28:29], v32
	v_cndmask_b32_e64 v36, v6, -v6, s[18:19]
	v_cvt_f64_f32_e32 v[10:11], v10
	v_cvt_f64_f32_e32 v[30:31], v36
	v_fma_f64 v[28:29], s[14:15], v[25:26], v[28:29]
	v_cndmask_b32_e64 v40, v5, -v5, s[18:19]
	v_cndmask_b32_e64 v46, v8, -v8, s[18:19]
	v_fma_f64 v[30:31], s[14:15], v[10:11], v[30:31]
	v_cvt_f32_f64_e32 v33, v[28:29]
	v_cvt_f64_f32_e32 v[28:29], v9
	v_cvt_f32_f64_e32 v37, v[30:31]
	v_cndmask_b32_e64 v9, v32, v33, s[0:1]
	s_waitcnt vmcnt(0)
	v_fma_f32 v3, v9, v9, v3
	v_mul_f32_e32 v32, 0x4f800000, v3
	v_cmp_gt_f32_e32 vcc, s45, v3
	v_cndmask_b32_e32 v34, v3, v32, vcc
	v_sqrt_f32_e32 v35, v34
	v_cvt_f64_f32_e32 v[30:31], v9
	v_cvt_f64_f32_e32 v[32:33], v40
	v_add_u32_e32 v9, -1, v35
	v_add_u32_e32 v38, 1, v35
	v_fma_f32 v39, -v9, v35, v34
	v_fma_f32 v41, -v38, v35, v34
	v_cmp_ge_f32_e64 s[6:7], 0, v39
	v_cndmask_b32_e64 v9, v35, v9, s[6:7]
	v_cmp_lt_f32_e64 s[6:7], 0, v41
	v_cndmask_b32_e64 v9, v9, v38, s[6:7]
	v_mul_f32_e32 v35, 0x37800000, v9
	v_cndmask_b32_e32 v9, v9, v35, vcc
	v_cmp_class_f32_e32 vcc, v34, v27
	v_cndmask_b32_e32 v9, v9, v34, vcc
	v_cvt_f64_f32_e32 v[34:35], v9
	v_cndmask_b32_e64 v9, v36, v37, s[0:1]
	v_fma_f32 v2, v9, v9, v2
	v_mul_f64 v[30:31], v[13:14], v[30:31]
	v_add_f64 v[34:35], s[20:21], v[34:35]
	v_cvt_f64_f32_e32 v[36:37], v9
	v_mul_f32_e32 v9, 0x4f800000, v2
	v_cmp_gt_f32_e32 vcc, s45, v2
	v_cndmask_b32_e32 v9, v2, v9, vcc
	v_sqrt_f32_e32 v41, v9
	v_fma_f64 v[32:33], s[14:15], v[28:29], v[32:33]
	v_mul_f64 v[36:37], v[13:14], v[36:37]
	v_div_scale_f64 v[38:39], s[6:7], v[34:35], v[34:35], v[30:31]
	v_add_u32_e32 v42, -1, v41
	v_fma_f32 v43, -v42, v41, v9
	v_cmp_ge_f32_e64 s[6:7], 0, v43
	v_add_u32_e32 v43, 1, v41
	v_cndmask_b32_e64 v42, v41, v42, s[6:7]
	v_fma_f32 v41, -v43, v41, v9
	v_cmp_lt_f32_e64 s[6:7], 0, v41
	v_cndmask_b32_e64 v41, v42, v43, s[6:7]
	v_mul_f32_e32 v42, 0x37800000, v41
	v_cndmask_b32_e32 v41, v41, v42, vcc
	v_cvt_f32_f64_e32 v42, v[32:33]
	v_cmp_class_f32_e32 vcc, v9, v27
	v_cndmask_b32_e32 v9, v41, v9, vcc
	v_cvt_f64_f32_e32 v[32:33], v9
	v_cndmask_b32_e64 v9, v40, v42, s[0:1]
	v_cvt_f64_f32_e32 v[40:41], v12
	v_cvt_f64_f32_e32 v[42:43], v46
	v_fma_f32 v1, v9, v9, v1
	v_mul_f32_e32 v44, 0x4f800000, v1
	v_cmp_gt_f32_e32 vcc, s45, v1
	v_fma_f64 v[42:43], s[14:15], v[40:41], v[42:43]
	v_cndmask_b32_e32 v12, v1, v44, vcc
	v_sqrt_f32_e32 v47, v12
	v_cvt_f64_f32_e32 v[44:45], v9
	v_add_f64 v[32:33], s[20:21], v[32:33]
	v_rcp_f64_e32 v[56:57], v[38:39]
	v_add_u32_e32 v9, -1, v47
	v_fma_f32 v48, -v9, v47, v12
	v_cvt_f32_f64_e32 v42, v[42:43]
	v_cmp_ge_f32_e64 s[6:7], 0, v48
	v_add_u32_e32 v48, 1, v47
	v_cndmask_b32_e64 v9, v47, v9, s[6:7]
	v_fma_f32 v47, -v48, v47, v12
	v_cmp_lt_f32_e64 s[6:7], 0, v47
	v_cndmask_b32_e64 v9, v9, v48, s[6:7]
	v_cndmask_b32_e64 v46, v46, v42, s[0:1]
	v_mul_f32_e32 v43, 0x37800000, v9
	v_fmac_f32_e32 v4, v46, v46
	v_cndmask_b32_e32 v9, v9, v43, vcc
	v_mul_f32_e32 v42, 0x4f800000, v4
	v_cmp_gt_f32_e32 vcc, s45, v4
	v_cndmask_b32_e32 v48, v4, v42, vcc
	v_sqrt_f32_e32 v49, v48
	v_cmp_class_f32_e64 s[6:7], v12, v27
	v_cndmask_b32_e64 v9, v9, v12, s[6:7]
	v_cvt_f64_f32_e32 v[42:43], v9
	v_add_u32_e32 v9, -1, v49
	v_fma_f32 v12, -v9, v49, v48
	v_cmp_ge_f32_e64 s[6:7], 0, v12
	v_add_u32_e32 v12, 1, v49
	v_cndmask_b32_e64 v9, v49, v9, s[6:7]
	v_fma_f32 v49, -v12, v49, v48
	v_cmp_lt_f32_e64 s[6:7], 0, v49
	v_cndmask_b32_e64 v9, v9, v12, s[6:7]
	v_mul_f32_e32 v12, 0x37800000, v9
	v_cndmask_b32_e32 v9, v9, v12, vcc
	v_cmp_class_f32_e32 vcc, v48, v27
	v_cndmask_b32_e32 v9, v9, v48, vcc
	v_cvt_f64_f32_e32 v[46:47], v46
	v_cvt_f64_f32_e32 v[48:49], v9
	v_mul_f64 v[44:45], v[13:14], v[44:45]
	v_add_f64 v[42:43], s[20:21], v[42:43]
	v_mul_f64 v[46:47], v[13:14], v[46:47]
	v_add_f64 v[48:49], s[20:21], v[48:49]
	v_div_scale_f64 v[50:51], s[6:7], v[32:33], v[32:33], v[36:37]
	v_fma_f64 v[64:65], -v[38:39], v[56:57], 1.0
	v_div_scale_f64 v[52:53], s[6:7], v[42:43], v[42:43], v[44:45]
	v_div_scale_f64 v[54:55], s[6:7], v[48:49], v[48:49], v[46:47]
	;; [unrolled: 1-line block ×3, first 2 shown]
	v_fma_f64 v[56:57], v[56:57], v[64:65], v[56:57]
	v_div_scale_f64 v[74:75], s[8:9], v[44:45], v[42:43], v[44:45]
	v_div_scale_f64 v[78:79], s[10:11], v[46:47], v[48:49], v[46:47]
	v_rcp_f64_e32 v[58:59], v[50:51]
	v_rcp_f64_e32 v[60:61], v[52:53]
	;; [unrolled: 1-line block ×3, first 2 shown]
	v_fma_f64 v[66:67], -v[50:51], v[58:59], 1.0
	v_fma_f64 v[68:69], -v[52:53], v[60:61], 1.0
	;; [unrolled: 1-line block ×3, first 2 shown]
	v_fma_f64 v[58:59], v[58:59], v[66:67], v[58:59]
	v_fma_f64 v[66:67], -v[38:39], v[56:57], 1.0
	v_fma_f64 v[60:61], v[60:61], v[68:69], v[60:61]
	v_fma_f64 v[62:63], v[62:63], v[64:65], v[62:63]
	v_div_scale_f64 v[64:65], vcc, v[30:31], v[34:35], v[30:31]
	v_fma_f64 v[68:69], -v[50:51], v[58:59], 1.0
	v_fma_f64 v[56:57], v[56:57], v[66:67], v[56:57]
	v_fma_f64 v[72:73], -v[52:53], v[60:61], 1.0
	v_fma_f64 v[76:77], -v[54:55], v[62:63], 1.0
	v_fma_f64 v[58:59], v[58:59], v[68:69], v[58:59]
	v_fma_f64 v[60:61], v[60:61], v[72:73], v[60:61]
	;; [unrolled: 1-line block ×3, first 2 shown]
	v_mul_f64 v[66:67], v[64:65], v[56:57]
	v_mul_f64 v[68:69], v[70:71], v[58:59]
	;; [unrolled: 1-line block ×4, first 2 shown]
	v_fma_f64 v[38:39], -v[38:39], v[66:67], v[64:65]
	v_fma_f64 v[50:51], -v[50:51], v[68:69], v[70:71]
	;; [unrolled: 1-line block ×4, first 2 shown]
	v_div_fmas_f64 v[38:39], v[38:39], v[56:57], v[66:67]
	s_mov_b64 vcc, s[6:7]
	v_div_fmas_f64 v[50:51], v[50:51], v[58:59], v[68:69]
	s_mov_b64 vcc, s[8:9]
	;; [unrolled: 2-line block ×3, first 2 shown]
	v_div_fmas_f64 v[54:55], v[54:55], v[62:63], v[76:77]
	s_and_b64 vcc, exec, s[2:3]
	v_div_fixup_f64 v[30:31], v[38:39], v[34:35], v[30:31]
	v_div_fixup_f64 v[32:33], v[50:51], v[32:33], v[36:37]
	;; [unrolled: 1-line block ×4, first 2 shown]
	v_add_f64 v[25:26], v[25:26], -v[30:31]
	v_add_f64 v[9:10], v[10:11], -v[32:33]
	;; [unrolled: 1-line block ×4, first 2 shown]
	v_cvt_f32_f64_e32 v11, v[25:26]
	v_cvt_f32_f64_e32 v10, v[9:10]
	;; [unrolled: 1-line block ×4, first 2 shown]
	global_store_dwordx4 v[23:24], v[9:12], off
	s_cbranch_vccnz .LBB1_8
; %bb.18:                               ;   in Loop: Header=BB1_9 Depth=1
	global_store_dwordx4 v[21:22], v[5:8], off
	s_branch .LBB1_8
.LBB1_19:
	s_or_b64 exec, exec, s[28:29]
	s_mov_b64 s[0:1], 0
.LBB1_20:
	s_andn2_b64 vcc, exec, s[0:1]
	s_cbranch_vccnz .LBB1_74
; %bb.21:
	v_cmp_lt_i64_e64 s[0:1], s[26:27], 1
	s_and_b64 vcc, exec, s[0:1]
	s_cbranch_vccnz .LBB1_74
; %bb.22:
	v_mov_b32_e32 v3, 0x10000
	s_load_dword s2, s[4:5], 0xe1c
	v_mov_b32_e32 v4, 0
	v_cmp_lt_i64_e32 vcc, s[26:27], v[3:4]
	v_lshlrev_b32_e32 v1, 2, v0
	s_and_b64 s[0:1], vcc, exec
	v_cmp_lt_u64_e32 vcc, s[26:27], v[3:4]
	s_cselect_b32 s25, s27, 0
	s_cselect_b32 s24, s26, 0x10000
	s_waitcnt lgkmcnt(0)
	s_and_b32 s4, s2, 0xffff
	v_mov_b32_e32 v2, 0
	s_and_b64 s[0:1], vcc, exec
	v_mov_b32_e32 v3, s37
	v_add_co_u32_e32 v11, vcc, s36, v1
	v_addc_co_u32_e32 v12, vcc, 0, v3, vcc
	v_mad_u64_u32 v[3:4], s[2:3], s4, 12, v[1:2]
	v_mov_b32_e32 v6, s37
	s_cselect_b32 s27, s27, 0
	v_add_co_u32_e32 v15, vcc, s36, v3
	v_addc_co_u32_e32 v16, vcc, v6, v4, vcc
	v_mov_b32_e32 v6, s35
	v_add_co_u32_e32 v17, vcc, s34, v3
	s_cselect_b32 s26, s26, 0x10000
	s_lshl_b32 s5, s4, 1
	v_addc_co_u32_e32 v18, vcc, v6, v4, vcc
	s_cmp_lg_u64 s[16:17], 0
	v_mov_b32_e32 v6, s13
	v_add_co_u32_e32 v19, vcc, s12, v3
	s_cselect_b64 s[30:31], -1, 0
	v_addc_co_u32_e32 v20, vcc, v6, v4, vcc
	s_lshl_b32 s2, s4, 3
	v_add_co_u32_e32 v3, vcc, s2, v1
	v_addc_co_u32_e64 v4, s[2:3], 0, 0, vcc
	v_mov_b32_e32 v6, s37
	v_add_co_u32_e32 v21, vcc, s36, v3
	v_addc_co_u32_e32 v22, vcc, v6, v4, vcc
	v_mov_b32_e32 v6, s35
	v_add_co_u32_e32 v23, vcc, s34, v3
	v_addc_co_u32_e32 v24, vcc, v6, v4, vcc
	;; [unrolled: 3-line block ×5, first 2 shown]
	v_add_co_u32_e32 v30, vcc, s4, v0
	v_lshlrev_b32_e32 v3, 2, v30
	v_addc_co_u32_e64 v31, s[2:3], 0, 0, vcc
	v_mov_b32_e32 v4, s37
	v_add_co_u32_e32 v32, vcc, s36, v3
	v_cmp_neq_f64_e64 s[0:1], s[14:15], 0
	v_addc_co_u32_e32 v33, vcc, 0, v4, vcc
	v_mov_b32_e32 v4, s35
	v_add_co_u32_e32 v34, vcc, s34, v3
	v_addc_co_u32_e32 v35, vcc, 0, v4, vcc
	v_mov_b32_e32 v4, s13
	v_add_co_u32_e32 v36, vcc, s12, v3
	s_mul_i32 s6, s4, 3
	v_addc_co_u32_e32 v37, vcc, 0, v4, vcc
	v_add_co_u32_e32 v38, vcc, s6, v0
	v_addc_co_u32_e64 v39, s[2:3], 0, 0, vcc
	v_add_co_u32_e32 v40, vcc, s5, v0
	s_mov_b64 s[28:29], 0
	s_lshl_b32 s33, s4, 2
	s_lshl_b32 s38, s4, 4
	s_mov_b32 s36, 0xf800000
	v_addc_co_u32_e64 v41, s[2:3], 0, 0, vcc
	v_mov_b32_e32 v42, 0x260
	s_branch .LBB1_24
.LBB1_23:                               ;   in Loop: Header=BB1_24 Depth=1
	s_or_b64 exec, exec, s[2:3]
	v_add_co_u32_e32 v11, vcc, s38, v11
	v_addc_co_u32_e32 v12, vcc, 0, v12, vcc
	v_add_co_u32_e32 v27, vcc, s38, v27
	v_addc_co_u32_e32 v28, vcc, 0, v28, vcc
	v_add_co_u32_e32 v1, vcc, s38, v1
	v_addc_co_u32_e32 v29, vcc, 0, v29, vcc
	v_add_co_u32_e32 v15, vcc, s38, v15
	v_addc_co_u32_e32 v16, vcc, 0, v16, vcc
	v_add_co_u32_e32 v17, vcc, s38, v17
	v_addc_co_u32_e32 v18, vcc, 0, v18, vcc
	v_add_co_u32_e32 v19, vcc, s38, v19
	v_addc_co_u32_e32 v20, vcc, 0, v20, vcc
	v_add_co_u32_e32 v21, vcc, s38, v21
	v_addc_co_u32_e32 v22, vcc, 0, v22, vcc
	v_add_co_u32_e32 v23, vcc, s38, v23
	v_addc_co_u32_e32 v24, vcc, 0, v24, vcc
	v_add_co_u32_e32 v25, vcc, s38, v25
	v_addc_co_u32_e32 v26, vcc, 0, v26, vcc
	v_add_co_u32_e32 v32, vcc, s38, v32
	v_addc_co_u32_e32 v33, vcc, 0, v33, vcc
	s_add_u32 s28, s28, s33
	v_add_co_u32_e32 v34, vcc, s38, v34
	v_mov_b32_e32 v3, s24
	s_addc_u32 s29, s29, 0
	v_addc_co_u32_e32 v35, vcc, 0, v35, vcc
	v_mov_b32_e32 v4, s25
	v_cmp_ge_i64_e32 vcc, s[28:29], v[3:4]
	v_add_co_u32_e64 v36, s[2:3], s38, v36
	v_addc_co_u32_e64 v37, s[2:3], 0, v37, s[2:3]
	s_cbranch_vccnz .LBB1_74
.LBB1_24:                               ; =>This Inner Loop Header: Depth=1
	v_mov_b32_e32 v4, s29
	v_add_co_u32_e32 v3, vcc, s28, v0
	v_addc_co_u32_e32 v4, vcc, 0, v4, vcc
	v_cmp_gt_u64_e64 s[2:3], s[26:27], v[3:4]
	v_mov_b32_e32 v9, 0
	v_mov_b32_e32 v10, 0
	;; [unrolled: 1-line block ×3, first 2 shown]
	s_and_saveexec_b64 s[4:5], s[2:3]
	s_cbranch_execz .LBB1_26
; %bb.25:                               ;   in Loop: Header=BB1_24 Depth=1
	v_mov_b32_e32 v5, s23
	v_add_co_u32_e32 v3, vcc, s22, v11
	v_addc_co_u32_e32 v4, vcc, v12, v5, vcc
	global_load_dword v6, v[3:4], off
	v_add_co_u32_e32 v3, vcc, s22, v27
	v_addc_co_u32_e32 v4, vcc, v28, v5, vcc
	global_load_dword v44, v[3:4], off
	s_waitcnt vmcnt(1)
	v_cvt_f64_f32_e32 v[9:10], v6
.LBB1_26:                               ;   in Loop: Header=BB1_24 Depth=1
	s_or_b64 exec, exec, s[4:5]
	v_mov_b32_e32 v46, 0
	v_mov_b32_e32 v43, 0
	s_and_saveexec_b64 s[4:5], s[2:3]
	s_cbranch_execz .LBB1_28
; %bb.27:                               ;   in Loop: Header=BB1_24 Depth=1
	v_mov_b32_e32 v4, s23
	v_add_co_u32_e32 v3, vcc, s22, v1
	v_addc_co_u32_e32 v4, vcc, v29, v4, vcc
	global_load_dword v43, v[3:4], off
.LBB1_28:                               ;   in Loop: Header=BB1_24 Depth=1
	s_or_b64 exec, exec, s[4:5]
	v_mov_b32_e32 v4, s29
	v_add_co_u32_e32 v3, vcc, s28, v30
	v_addc_co_u32_e32 v4, vcc, v31, v4, vcc
	v_cmp_gt_u64_e64 s[4:5], s[26:27], v[3:4]
	v_mov_b32_e32 v7, 0
	v_mov_b32_e32 v8, 0
	s_and_saveexec_b64 s[6:7], s[4:5]
	s_cbranch_execz .LBB1_30
; %bb.29:                               ;   in Loop: Header=BB1_24 Depth=1
	v_mov_b32_e32 v5, s23
	v_add_co_u32_e32 v3, vcc, s22, v32
	v_addc_co_u32_e32 v4, vcc, v33, v5, vcc
	global_load_dword v6, v[3:4], off
	v_add_co_u32_e32 v3, vcc, s22, v34
	v_addc_co_u32_e32 v4, vcc, v35, v5, vcc
	global_load_dword v46, v[3:4], off
	s_waitcnt vmcnt(1)
	v_cvt_f64_f32_e32 v[7:8], v6
.LBB1_30:                               ;   in Loop: Header=BB1_24 Depth=1
	s_or_b64 exec, exec, s[6:7]
	v_mov_b32_e32 v48, 0
	v_mov_b32_e32 v45, 0
	s_and_saveexec_b64 s[6:7], s[4:5]
	s_cbranch_execz .LBB1_32
; %bb.31:                               ;   in Loop: Header=BB1_24 Depth=1
	v_mov_b32_e32 v4, s23
	v_add_co_u32_e32 v3, vcc, s22, v36
	v_addc_co_u32_e32 v4, vcc, v37, v4, vcc
	global_load_dword v45, v[3:4], off
.LBB1_32:                               ;   in Loop: Header=BB1_24 Depth=1
	s_or_b64 exec, exec, s[6:7]
	v_mov_b32_e32 v4, s29
	v_add_co_u32_e32 v3, vcc, s28, v40
	v_addc_co_u32_e32 v4, vcc, v41, v4, vcc
	v_cmp_gt_u64_e64 s[6:7], s[26:27], v[3:4]
	v_mov_b32_e32 v5, 0
	v_mov_b32_e32 v6, 0
	;; [unrolled: 31-line block ×3, first 2 shown]
	s_and_saveexec_b64 s[10:11], s[8:9]
	s_cbranch_execz .LBB1_38
; %bb.37:                               ;   in Loop: Header=BB1_24 Depth=1
	v_mov_b32_e32 v49, s23
	v_add_co_u32_e32 v3, vcc, s22, v15
	v_addc_co_u32_e32 v4, vcc, v16, v49, vcc
	global_load_dword v51, v[3:4], off
	v_add_co_u32_e32 v3, vcc, s22, v17
	v_addc_co_u32_e32 v4, vcc, v18, v49, vcc
	global_load_dword v50, v[3:4], off
	s_waitcnt vmcnt(1)
	v_cvt_f64_f32_e32 v[3:4], v51
.LBB1_38:                               ;   in Loop: Header=BB1_24 Depth=1
	s_or_b64 exec, exec, s[10:11]
	v_mov_b32_e32 v49, 0
	s_and_saveexec_b64 s[10:11], s[8:9]
	s_cbranch_execz .LBB1_40
; %bb.39:                               ;   in Loop: Header=BB1_24 Depth=1
	v_mov_b32_e32 v49, s23
	v_add_co_u32_e32 v51, vcc, s22, v19
	v_addc_co_u32_e32 v52, vcc, v20, v49, vcc
	global_load_dword v49, v[51:52], off
.LBB1_40:                               ;   in Loop: Header=BB1_24 Depth=1
	s_or_b64 exec, exec, s[10:11]
	v_cndmask_b32_e64 v51, 0, 1, s[30:31]
	v_cmp_ne_u32_e64 s[10:11], 1, v51
	s_andn2_b64 vcc, exec, s[30:31]
	s_cbranch_vccnz .LBB1_42
; %bb.41:                               ;   in Loop: Header=BB1_24 Depth=1
	global_load_dword v51, v2, s[16:17]
	s_waitcnt vmcnt(0)
	v_div_scale_f32 v52, s[12:13], v51, v51, v44
	v_div_scale_f32 v53, vcc, v44, v51, v44
	v_rcp_f32_e32 v54, v52
	v_fma_f32 v55, -v52, v54, 1.0
	v_fmac_f32_e32 v54, v55, v54
	v_mul_f32_e32 v55, v53, v54
	v_fma_f32 v56, -v52, v55, v53
	v_fmac_f32_e32 v55, v56, v54
	v_fma_f32 v52, -v52, v55, v53
	v_div_fmas_f32 v52, v52, v54, v55
	v_div_fixup_f32 v44, v52, v51, v44
.LBB1_42:                               ;   in Loop: Header=BB1_24 Depth=1
	s_and_b64 vcc, exec, s[10:11]
	s_cbranch_vccnz .LBB1_44
; %bb.43:                               ;   in Loop: Header=BB1_24 Depth=1
	global_load_dword v51, v2, s[16:17]
	s_waitcnt vmcnt(0)
	v_div_scale_f32 v52, s[12:13], v51, v51, v46
	v_div_scale_f32 v53, vcc, v46, v51, v46
	v_rcp_f32_e32 v54, v52
	v_fma_f32 v55, -v52, v54, 1.0
	v_fmac_f32_e32 v54, v55, v54
	v_mul_f32_e32 v55, v53, v54
	v_fma_f32 v56, -v52, v55, v53
	v_fmac_f32_e32 v55, v56, v54
	v_fma_f32 v52, -v52, v55, v53
	v_div_fmas_f32 v52, v52, v54, v55
	v_div_fixup_f32 v46, v52, v51, v46
.LBB1_44:                               ;   in Loop: Header=BB1_24 Depth=1
	s_and_b64 vcc, exec, s[10:11]
	;; [unrolled: 17-line block ×3, first 2 shown]
	s_cbranch_vccnz .LBB1_48
; %bb.47:                               ;   in Loop: Header=BB1_24 Depth=1
	global_load_dword v51, v2, s[16:17]
	s_waitcnt vmcnt(0)
	v_div_scale_f32 v52, s[12:13], v51, v51, v50
	v_div_scale_f32 v53, vcc, v50, v51, v50
	v_rcp_f32_e32 v54, v52
	v_fma_f32 v55, -v52, v54, 1.0
	v_fmac_f32_e32 v54, v55, v54
	v_mul_f32_e32 v55, v53, v54
	v_fma_f32 v56, -v52, v55, v53
	v_fmac_f32_e32 v55, v56, v54
	v_fma_f32 v52, -v52, v55, v53
	v_div_fmas_f32 v52, v52, v54, v55
	v_div_fixup_f32 v50, v52, v51, v50
.LBB1_48:                               ;   in Loop: Header=BB1_24 Depth=1
	s_waitcnt vmcnt(0)
	v_cndmask_b32_e64 v53, v44, -v44, s[18:19]
	v_cvt_f64_f32_e32 v[51:52], v53
	v_fma_f64 v[51:52], s[14:15], v[9:10], v[51:52]
	v_cvt_f32_f64_e32 v51, v[51:52]
	v_cndmask_b32_e64 v51, v53, v51, s[0:1]
	v_fmac_f32_e32 v43, v51, v51
	s_and_saveexec_b64 s[34:35], s[2:3]
	s_cbranch_execz .LBB1_50
; %bb.49:                               ;   in Loop: Header=BB1_24 Depth=1
	v_mul_f32_e32 v52, 0x4f800000, v43
	v_cmp_gt_f32_e32 vcc, s36, v43
	v_cndmask_b32_e32 v53, v43, v52, vcc
	v_sqrt_f32_e32 v54, v53
	v_cvt_f64_f32_e32 v[51:52], v51
	v_add_u32_e32 v55, -1, v54
	v_fma_f32 v57, -v55, v54, v53
	v_add_u32_e32 v56, 1, v54
	v_cmp_ge_f32_e64 s[12:13], 0, v57
	v_cndmask_b32_e64 v55, v54, v55, s[12:13]
	v_fma_f32 v54, -v56, v54, v53
	v_cmp_lt_f32_e64 s[12:13], 0, v54
	v_cndmask_b32_e64 v54, v55, v56, s[12:13]
	v_mul_f32_e32 v55, 0x37800000, v54
	v_cndmask_b32_e32 v54, v54, v55, vcc
	v_cmp_class_f32_e32 vcc, v53, v42
	v_cndmask_b32_e32 v53, v54, v53, vcc
	v_cvt_f64_f32_e32 v[53:54], v53
	v_mul_f64 v[51:52], v[13:14], v[51:52]
	v_add_f64 v[53:54], s[20:21], v[53:54]
	v_div_scale_f64 v[55:56], s[12:13], v[53:54], v[53:54], v[51:52]
	v_rcp_f64_e32 v[57:58], v[55:56]
	v_fma_f64 v[59:60], -v[55:56], v[57:58], 1.0
	v_fma_f64 v[57:58], v[57:58], v[59:60], v[57:58]
	v_div_scale_f64 v[59:60], vcc, v[51:52], v[53:54], v[51:52]
	v_fma_f64 v[61:62], -v[55:56], v[57:58], 1.0
	v_fma_f64 v[57:58], v[57:58], v[61:62], v[57:58]
	v_mul_f64 v[61:62], v[59:60], v[57:58]
	v_fma_f64 v[55:56], -v[55:56], v[61:62], v[59:60]
	v_div_fmas_f64 v[55:56], v[55:56], v[57:58], v[61:62]
	v_div_fixup_f64 v[51:52], v[55:56], v[53:54], v[51:52]
	v_add_f64 v[9:10], v[9:10], -v[51:52]
	v_mov_b32_e32 v51, s23
	v_cvt_f32_f64_e32 v52, v[9:10]
	v_add_co_u32_e32 v9, vcc, s22, v11
	v_addc_co_u32_e32 v10, vcc, v12, v51, vcc
	global_store_dword v[9:10], v52, off
.LBB1_50:                               ;   in Loop: Header=BB1_24 Depth=1
	s_or_b64 exec, exec, s[34:35]
	v_cndmask_b32_e64 v51, v46, -v46, s[18:19]
	v_cvt_f64_f32_e32 v[9:10], v51
	v_fma_f64 v[9:10], s[14:15], v[7:8], v[9:10]
	v_cvt_f32_f64_e32 v9, v[9:10]
	v_cndmask_b32_e64 v9, v51, v9, s[0:1]
	v_fmac_f32_e32 v45, v9, v9
	s_and_saveexec_b64 s[34:35], s[4:5]
	s_cbranch_execz .LBB1_52
; %bb.51:                               ;   in Loop: Header=BB1_24 Depth=1
	v_mul_f32_e32 v10, 0x4f800000, v45
	v_cmp_gt_f32_e32 vcc, s36, v45
	v_cndmask_b32_e32 v51, v45, v10, vcc
	v_sqrt_f32_e32 v52, v51
	v_cvt_f64_f32_e32 v[9:10], v9
	v_add_u32_e32 v53, -1, v52
	v_fma_f32 v54, -v53, v52, v51
	v_cmp_ge_f32_e64 s[12:13], 0, v54
	v_add_u32_e32 v54, 1, v52
	v_cndmask_b32_e64 v53, v52, v53, s[12:13]
	v_fma_f32 v52, -v54, v52, v51
	v_cmp_lt_f32_e64 s[12:13], 0, v52
	v_cndmask_b32_e64 v52, v53, v54, s[12:13]
	v_mul_f32_e32 v53, 0x37800000, v52
	v_cndmask_b32_e32 v52, v52, v53, vcc
	v_cmp_class_f32_e32 vcc, v51, v42
	v_cndmask_b32_e32 v51, v52, v51, vcc
	v_cvt_f64_f32_e32 v[51:52], v51
	v_mul_f64 v[9:10], v[13:14], v[9:10]
	v_add_f64 v[51:52], s[20:21], v[51:52]
	v_div_scale_f64 v[53:54], s[12:13], v[51:52], v[51:52], v[9:10]
	v_rcp_f64_e32 v[55:56], v[53:54]
	v_fma_f64 v[57:58], -v[53:54], v[55:56], 1.0
	v_fma_f64 v[55:56], v[55:56], v[57:58], v[55:56]
	v_div_scale_f64 v[57:58], vcc, v[9:10], v[51:52], v[9:10]
	v_fma_f64 v[59:60], -v[53:54], v[55:56], 1.0
	v_fma_f64 v[55:56], v[55:56], v[59:60], v[55:56]
	v_mul_f64 v[59:60], v[57:58], v[55:56]
	v_fma_f64 v[53:54], -v[53:54], v[59:60], v[57:58]
	v_div_fmas_f64 v[53:54], v[53:54], v[55:56], v[59:60]
	v_div_fixup_f64 v[9:10], v[53:54], v[51:52], v[9:10]
	v_add_f64 v[7:8], v[7:8], -v[9:10]
	v_mov_b32_e32 v9, s23
	v_cvt_f32_f64_e32 v10, v[7:8]
	v_add_co_u32_e32 v7, vcc, s22, v32
	v_addc_co_u32_e32 v8, vcc, v33, v9, vcc
	global_store_dword v[7:8], v10, off
.LBB1_52:                               ;   in Loop: Header=BB1_24 Depth=1
	s_or_b64 exec, exec, s[34:35]
	v_cndmask_b32_e64 v9, v48, -v48, s[18:19]
	v_cvt_f64_f32_e32 v[7:8], v9
	v_fma_f64 v[7:8], s[14:15], v[5:6], v[7:8]
	v_cvt_f32_f64_e32 v7, v[7:8]
	v_cndmask_b32_e64 v7, v9, v7, s[0:1]
	v_fmac_f32_e32 v47, v7, v7
	s_and_saveexec_b64 s[34:35], s[6:7]
	s_cbranch_execz .LBB1_54
; %bb.53:                               ;   in Loop: Header=BB1_24 Depth=1
	v_mul_f32_e32 v8, 0x4f800000, v47
	v_cmp_gt_f32_e32 vcc, s36, v47
	v_cndmask_b32_e32 v9, v47, v8, vcc
	v_sqrt_f32_e32 v10, v9
	v_cvt_f64_f32_e32 v[7:8], v7
	v_add_u32_e32 v51, -1, v10
	v_fma_f32 v52, -v51, v10, v9
	v_cmp_ge_f32_e64 s[12:13], 0, v52
	v_add_u32_e32 v52, 1, v10
	v_cndmask_b32_e64 v51, v10, v51, s[12:13]
	v_fma_f32 v10, -v52, v10, v9
	v_cmp_lt_f32_e64 s[12:13], 0, v10
	v_cndmask_b32_e64 v10, v51, v52, s[12:13]
	v_mul_f32_e32 v51, 0x37800000, v10
	v_cndmask_b32_e32 v10, v10, v51, vcc
	v_cmp_class_f32_e32 vcc, v9, v42
	v_cndmask_b32_e32 v9, v10, v9, vcc
	v_cvt_f64_f32_e32 v[9:10], v9
	v_mul_f64 v[7:8], v[13:14], v[7:8]
	v_add_f64 v[9:10], s[20:21], v[9:10]
	v_div_scale_f64 v[51:52], s[12:13], v[9:10], v[9:10], v[7:8]
	v_rcp_f64_e32 v[53:54], v[51:52]
	v_fma_f64 v[55:56], -v[51:52], v[53:54], 1.0
	v_fma_f64 v[53:54], v[53:54], v[55:56], v[53:54]
	v_div_scale_f64 v[55:56], vcc, v[7:8], v[9:10], v[7:8]
	v_fma_f64 v[57:58], -v[51:52], v[53:54], 1.0
	v_fma_f64 v[53:54], v[53:54], v[57:58], v[53:54]
	v_mul_f64 v[57:58], v[55:56], v[53:54]
	v_fma_f64 v[51:52], -v[51:52], v[57:58], v[55:56]
	v_div_fmas_f64 v[51:52], v[51:52], v[53:54], v[57:58]
	v_div_fixup_f64 v[7:8], v[51:52], v[9:10], v[7:8]
	v_add_f64 v[5:6], v[5:6], -v[7:8]
	v_mov_b32_e32 v7, s23
	v_cvt_f32_f64_e32 v8, v[5:6]
	v_add_co_u32_e32 v5, vcc, s22, v21
	v_addc_co_u32_e32 v6, vcc, v22, v7, vcc
	global_store_dword v[5:6], v8, off
.LBB1_54:                               ;   in Loop: Header=BB1_24 Depth=1
	;; [unrolled: 48-line block ×3, first 2 shown]
	s_or_b64 exec, exec, s[34:35]
	s_and_b64 vcc, exec, s[10:11]
	s_cbranch_vccnz .LBB1_63
; %bb.57:                               ;   in Loop: Header=BB1_24 Depth=1
	s_and_saveexec_b64 s[10:11], s[2:3]
	s_cbranch_execnz .LBB1_71
; %bb.58:                               ;   in Loop: Header=BB1_24 Depth=1
	s_or_b64 exec, exec, s[10:11]
	s_and_saveexec_b64 s[10:11], s[4:5]
	s_cbranch_execnz .LBB1_72
.LBB1_59:                               ;   in Loop: Header=BB1_24 Depth=1
	s_or_b64 exec, exec, s[10:11]
	s_and_saveexec_b64 s[10:11], s[6:7]
	s_cbranch_execnz .LBB1_73
.LBB1_60:                               ;   in Loop: Header=BB1_24 Depth=1
	s_or_b64 exec, exec, s[10:11]
	s_and_saveexec_b64 s[10:11], s[8:9]
	s_cbranch_execz .LBB1_62
.LBB1_61:                               ;   in Loop: Header=BB1_24 Depth=1
	v_mov_b32_e32 v4, s23
	v_add_co_u32_e32 v3, vcc, s22, v17
	v_addc_co_u32_e32 v4, vcc, v18, v4, vcc
	global_store_dword v[3:4], v50, off
.LBB1_62:                               ;   in Loop: Header=BB1_24 Depth=1
	s_or_b64 exec, exec, s[10:11]
.LBB1_63:                               ;   in Loop: Header=BB1_24 Depth=1
	s_and_saveexec_b64 s[10:11], s[2:3]
	s_cbranch_execnz .LBB1_67
; %bb.64:                               ;   in Loop: Header=BB1_24 Depth=1
	s_or_b64 exec, exec, s[10:11]
	s_and_saveexec_b64 s[2:3], s[4:5]
	s_cbranch_execnz .LBB1_68
.LBB1_65:                               ;   in Loop: Header=BB1_24 Depth=1
	s_or_b64 exec, exec, s[2:3]
	s_and_saveexec_b64 s[2:3], s[6:7]
	s_cbranch_execnz .LBB1_69
.LBB1_66:                               ;   in Loop: Header=BB1_24 Depth=1
	s_or_b64 exec, exec, s[2:3]
	s_and_saveexec_b64 s[2:3], s[8:9]
	s_cbranch_execz .LBB1_23
	s_branch .LBB1_70
.LBB1_67:                               ;   in Loop: Header=BB1_24 Depth=1
	v_mov_b32_e32 v4, s23
	v_add_co_u32_e32 v3, vcc, s22, v1
	v_addc_co_u32_e32 v4, vcc, v29, v4, vcc
	global_store_dword v[3:4], v43, off
	s_or_b64 exec, exec, s[10:11]
	s_and_saveexec_b64 s[2:3], s[4:5]
	s_cbranch_execz .LBB1_65
.LBB1_68:                               ;   in Loop: Header=BB1_24 Depth=1
	v_mov_b32_e32 v4, s23
	v_add_co_u32_e32 v3, vcc, s22, v36
	v_addc_co_u32_e32 v4, vcc, v37, v4, vcc
	global_store_dword v[3:4], v45, off
	s_or_b64 exec, exec, s[2:3]
	s_and_saveexec_b64 s[2:3], s[6:7]
	s_cbranch_execz .LBB1_66
.LBB1_69:                               ;   in Loop: Header=BB1_24 Depth=1
	v_mov_b32_e32 v4, s23
	v_add_co_u32_e32 v3, vcc, s22, v25
	v_addc_co_u32_e32 v4, vcc, v26, v4, vcc
	global_store_dword v[3:4], v47, off
	s_or_b64 exec, exec, s[2:3]
	s_and_saveexec_b64 s[2:3], s[8:9]
	s_cbranch_execz .LBB1_23
.LBB1_70:                               ;   in Loop: Header=BB1_24 Depth=1
	v_mov_b32_e32 v4, s23
	v_add_co_u32_e32 v3, vcc, s22, v19
	v_addc_co_u32_e32 v4, vcc, v20, v4, vcc
	global_store_dword v[3:4], v49, off
	s_branch .LBB1_23
.LBB1_71:                               ;   in Loop: Header=BB1_24 Depth=1
	v_mov_b32_e32 v4, s23
	v_add_co_u32_e32 v3, vcc, s22, v27
	v_addc_co_u32_e32 v4, vcc, v28, v4, vcc
	global_store_dword v[3:4], v44, off
	s_or_b64 exec, exec, s[10:11]
	s_and_saveexec_b64 s[10:11], s[4:5]
	s_cbranch_execz .LBB1_59
.LBB1_72:                               ;   in Loop: Header=BB1_24 Depth=1
	v_mov_b32_e32 v4, s23
	v_add_co_u32_e32 v3, vcc, s22, v34
	v_addc_co_u32_e32 v4, vcc, v35, v4, vcc
	global_store_dword v[3:4], v46, off
	s_or_b64 exec, exec, s[10:11]
	s_and_saveexec_b64 s[10:11], s[6:7]
	s_cbranch_execz .LBB1_60
.LBB1_73:                               ;   in Loop: Header=BB1_24 Depth=1
	v_mov_b32_e32 v4, s23
	v_add_co_u32_e32 v3, vcc, s22, v23
	v_addc_co_u32_e32 v4, vcc, v24, v4, vcc
	global_store_dword v[3:4], v48, off
	s_or_b64 exec, exec, s[10:11]
	s_and_saveexec_b64 s[10:11], s[8:9]
	s_cbranch_execnz .LBB1_61
	s_branch .LBB1_62
.LBB1_74:
	s_endpgm
	.section	.rodata,"a",@progbits
	.p2align	6, 0x0
	.amdhsa_kernel _ZN2at6native12_GLOBAL__N_125multi_tensor_apply_kernelINS1_32FusedOptimizerTensorListMetadataILi3EEENS1_23FusedAdagradMathFunctorIfEEJPKfddddbS8_S8_EEEvT_T0_DpT1_
		.amdhsa_group_segment_fixed_size 0
		.amdhsa_private_segment_fixed_size 0
		.amdhsa_kernarg_size 3856
		.amdhsa_user_sgpr_count 6
		.amdhsa_user_sgpr_private_segment_buffer 1
		.amdhsa_user_sgpr_dispatch_ptr 0
		.amdhsa_user_sgpr_queue_ptr 0
		.amdhsa_user_sgpr_kernarg_segment_ptr 1
		.amdhsa_user_sgpr_dispatch_id 0
		.amdhsa_user_sgpr_flat_scratch_init 0
		.amdhsa_user_sgpr_private_segment_size 0
		.amdhsa_uses_dynamic_stack 0
		.amdhsa_system_sgpr_private_segment_wavefront_offset 0
		.amdhsa_system_sgpr_workgroup_id_x 1
		.amdhsa_system_sgpr_workgroup_id_y 0
		.amdhsa_system_sgpr_workgroup_id_z 0
		.amdhsa_system_sgpr_workgroup_info 0
		.amdhsa_system_vgpr_workitem_id 0
		.amdhsa_next_free_vgpr 80
		.amdhsa_next_free_sgpr 46
		.amdhsa_reserve_vcc 1
		.amdhsa_reserve_flat_scratch 0
		.amdhsa_float_round_mode_32 0
		.amdhsa_float_round_mode_16_64 0
		.amdhsa_float_denorm_mode_32 3
		.amdhsa_float_denorm_mode_16_64 3
		.amdhsa_dx10_clamp 1
		.amdhsa_ieee_mode 1
		.amdhsa_fp16_overflow 0
		.amdhsa_exception_fp_ieee_invalid_op 0
		.amdhsa_exception_fp_denorm_src 0
		.amdhsa_exception_fp_ieee_div_zero 0
		.amdhsa_exception_fp_ieee_overflow 0
		.amdhsa_exception_fp_ieee_underflow 0
		.amdhsa_exception_fp_ieee_inexact 0
		.amdhsa_exception_int_div_zero 0
	.end_amdhsa_kernel
	.section	.text._ZN2at6native12_GLOBAL__N_125multi_tensor_apply_kernelINS1_32FusedOptimizerTensorListMetadataILi3EEENS1_23FusedAdagradMathFunctorIfEEJPKfddddbS8_S8_EEEvT_T0_DpT1_,"axG",@progbits,_ZN2at6native12_GLOBAL__N_125multi_tensor_apply_kernelINS1_32FusedOptimizerTensorListMetadataILi3EEENS1_23FusedAdagradMathFunctorIfEEJPKfddddbS8_S8_EEEvT_T0_DpT1_,comdat
.Lfunc_end1:
	.size	_ZN2at6native12_GLOBAL__N_125multi_tensor_apply_kernelINS1_32FusedOptimizerTensorListMetadataILi3EEENS1_23FusedAdagradMathFunctorIfEEJPKfddddbS8_S8_EEEvT_T0_DpT1_, .Lfunc_end1-_ZN2at6native12_GLOBAL__N_125multi_tensor_apply_kernelINS1_32FusedOptimizerTensorListMetadataILi3EEENS1_23FusedAdagradMathFunctorIfEEJPKfddddbS8_S8_EEEvT_T0_DpT1_
                                        ; -- End function
	.set _ZN2at6native12_GLOBAL__N_125multi_tensor_apply_kernelINS1_32FusedOptimizerTensorListMetadataILi3EEENS1_23FusedAdagradMathFunctorIfEEJPKfddddbS8_S8_EEEvT_T0_DpT1_.num_vgpr, 80
	.set _ZN2at6native12_GLOBAL__N_125multi_tensor_apply_kernelINS1_32FusedOptimizerTensorListMetadataILi3EEENS1_23FusedAdagradMathFunctorIfEEJPKfddddbS8_S8_EEEvT_T0_DpT1_.num_agpr, 0
	.set _ZN2at6native12_GLOBAL__N_125multi_tensor_apply_kernelINS1_32FusedOptimizerTensorListMetadataILi3EEENS1_23FusedAdagradMathFunctorIfEEJPKfddddbS8_S8_EEEvT_T0_DpT1_.numbered_sgpr, 46
	.set _ZN2at6native12_GLOBAL__N_125multi_tensor_apply_kernelINS1_32FusedOptimizerTensorListMetadataILi3EEENS1_23FusedAdagradMathFunctorIfEEJPKfddddbS8_S8_EEEvT_T0_DpT1_.num_named_barrier, 0
	.set _ZN2at6native12_GLOBAL__N_125multi_tensor_apply_kernelINS1_32FusedOptimizerTensorListMetadataILi3EEENS1_23FusedAdagradMathFunctorIfEEJPKfddddbS8_S8_EEEvT_T0_DpT1_.private_seg_size, 0
	.set _ZN2at6native12_GLOBAL__N_125multi_tensor_apply_kernelINS1_32FusedOptimizerTensorListMetadataILi3EEENS1_23FusedAdagradMathFunctorIfEEJPKfddddbS8_S8_EEEvT_T0_DpT1_.uses_vcc, 1
	.set _ZN2at6native12_GLOBAL__N_125multi_tensor_apply_kernelINS1_32FusedOptimizerTensorListMetadataILi3EEENS1_23FusedAdagradMathFunctorIfEEJPKfddddbS8_S8_EEEvT_T0_DpT1_.uses_flat_scratch, 0
	.set _ZN2at6native12_GLOBAL__N_125multi_tensor_apply_kernelINS1_32FusedOptimizerTensorListMetadataILi3EEENS1_23FusedAdagradMathFunctorIfEEJPKfddddbS8_S8_EEEvT_T0_DpT1_.has_dyn_sized_stack, 0
	.set _ZN2at6native12_GLOBAL__N_125multi_tensor_apply_kernelINS1_32FusedOptimizerTensorListMetadataILi3EEENS1_23FusedAdagradMathFunctorIfEEJPKfddddbS8_S8_EEEvT_T0_DpT1_.has_recursion, 0
	.set _ZN2at6native12_GLOBAL__N_125multi_tensor_apply_kernelINS1_32FusedOptimizerTensorListMetadataILi3EEENS1_23FusedAdagradMathFunctorIfEEJPKfddddbS8_S8_EEEvT_T0_DpT1_.has_indirect_call, 0
	.section	.AMDGPU.csdata,"",@progbits
; Kernel info:
; codeLenInByte = 5068
; TotalNumSgprs: 50
; NumVgprs: 80
; ScratchSize: 0
; MemoryBound: 0
; FloatMode: 240
; IeeeMode: 1
; LDSByteSize: 0 bytes/workgroup (compile time only)
; SGPRBlocks: 6
; VGPRBlocks: 19
; NumSGPRsForWavesPerEU: 50
; NumVGPRsForWavesPerEU: 80
; Occupancy: 3
; WaveLimiterHint : 0
; COMPUTE_PGM_RSRC2:SCRATCH_EN: 0
; COMPUTE_PGM_RSRC2:USER_SGPR: 6
; COMPUTE_PGM_RSRC2:TRAP_HANDLER: 0
; COMPUTE_PGM_RSRC2:TGID_X_EN: 1
; COMPUTE_PGM_RSRC2:TGID_Y_EN: 0
; COMPUTE_PGM_RSRC2:TGID_Z_EN: 0
; COMPUTE_PGM_RSRC2:TIDIG_COMP_CNT: 0
	.section	.text._ZN2at6native12_GLOBAL__N_125multi_tensor_apply_kernelINS1_32FusedOptimizerTensorListMetadataILi3EEENS1_23FusedAdagradMathFunctorIN3c104HalfEEEJPKfddddbSA_SA_EEEvT_T0_DpT1_,"axG",@progbits,_ZN2at6native12_GLOBAL__N_125multi_tensor_apply_kernelINS1_32FusedOptimizerTensorListMetadataILi3EEENS1_23FusedAdagradMathFunctorIN3c104HalfEEEJPKfddddbSA_SA_EEEvT_T0_DpT1_,comdat
	.globl	_ZN2at6native12_GLOBAL__N_125multi_tensor_apply_kernelINS1_32FusedOptimizerTensorListMetadataILi3EEENS1_23FusedAdagradMathFunctorIN3c104HalfEEEJPKfddddbSA_SA_EEEvT_T0_DpT1_ ; -- Begin function _ZN2at6native12_GLOBAL__N_125multi_tensor_apply_kernelINS1_32FusedOptimizerTensorListMetadataILi3EEENS1_23FusedAdagradMathFunctorIN3c104HalfEEEJPKfddddbSA_SA_EEEvT_T0_DpT1_
	.p2align	8
	.type	_ZN2at6native12_GLOBAL__N_125multi_tensor_apply_kernelINS1_32FusedOptimizerTensorListMetadataILi3EEENS1_23FusedAdagradMathFunctorIN3c104HalfEEEJPKfddddbSA_SA_EEEvT_T0_DpT1_,@function
_ZN2at6native12_GLOBAL__N_125multi_tensor_apply_kernelINS1_32FusedOptimizerTensorListMetadataILi3EEENS1_23FusedAdagradMathFunctorIN3c104HalfEEEJPKfddddbSA_SA_EEEvT_T0_DpT1_: ; @_ZN2at6native12_GLOBAL__N_125multi_tensor_apply_kernelINS1_32FusedOptimizerTensorListMetadataILi3EEENS1_23FusedAdagradMathFunctorIN3c104HalfEEEJPKfddddbSA_SA_EEEvT_T0_DpT1_
; %bb.0:
	v_mov_b32_e32 v1, s6
	global_load_ubyte v1, v1, s[4:5] offset:1920
	s_load_dwordx8 s[16:23], s[4:5], 0xdd0
	s_add_u32 s0, s4, s6
	s_mul_hi_u32 s1, s6, 3
	s_mul_i32 s6, s6, 3
	s_addc_u32 s2, s5, 0
	s_add_u32 s0, s0, s6
	s_addc_u32 s1, s2, s1
	s_waitcnt lgkmcnt(0)
	s_cmp_eq_u64 s[16:17], 0
	s_waitcnt vmcnt(0)
	v_readfirstlane_b32 s6, v1
	v_mov_b32_e32 v1, s18
	v_mov_b32_e32 v2, s19
	s_cbranch_scc1 .LBB2_2
; %bb.1:
	s_load_dword s2, s[16:17], 0x0
	s_waitcnt lgkmcnt(0)
	v_cvt_f64_f32_e32 v[1:2], s2
.LBB2_2:
	s_load_dwordx4 s[24:27], s[4:5], 0xe00
	s_waitcnt lgkmcnt(0)
	s_cmp_eq_u64 s[26:27], 0
	s_cselect_b64 s[2:3], -1, 0
	s_and_b64 vcc, exec, s[2:3]
	s_cbranch_vccnz .LBB2_4
; %bb.3:
	s_load_dword s2, s[26:27], 0x0
	s_waitcnt lgkmcnt(0)
	v_cmp_neq_f32_e64 s[2:3], s2, 1.0
.LBB2_4:
	s_andn2_b64 vcc, exec, s[2:3]
	s_cbranch_vccnz .LBB2_76
; %bb.5:
	s_load_dword s2, s[4:5], 0xdf8
	s_waitcnt lgkmcnt(0)
	s_bitcmp1_b32 s2, 0
	s_cselect_b64 s[26:27], -1, 0
	s_and_b32 s2, s6, 0xff
	s_lshl_b32 s6, s2, 3
	s_load_dwordx2 s[2:3], s[4:5], s6 offset:0x600
	s_waitcnt lgkmcnt(0)
	s_load_dword s2, s[2:3], 0x0
	s_waitcnt lgkmcnt(0)
	v_add_f32_e64 v3, s2, -1.0
	v_cvt_f64_f32_e32 v[3:4], v3
	v_fma_f64 v[3:4], s[20:21], v[3:4], 1.0
	v_div_scale_f64 v[5:6], s[2:3], v[3:4], v[3:4], v[1:2]
	s_load_dword s2, s[0:1], 0x8c0
	s_load_dwordx2 s[20:21], s[4:5], 0xdf0
	s_load_dwordx2 s[18:19], s[4:5], s6 offset:0x480
	s_load_dwordx2 s[14:15], s[4:5], s6 offset:0x0
	s_load_dwordx2 s[12:13], s[4:5], s6 offset:0x180
	s_load_dwordx2 s[10:11], s[4:5], s6 offset:0x300
	s_mov_b32 s1, 0
	s_mov_b32 s7, s1
	s_waitcnt lgkmcnt(0)
	s_ashr_i32 s3, s2, 31
	s_lshl_b64 s[8:9], s[2:3], 16
	s_sub_u32 s16, s18, s8
	s_subb_u32 s17, s19, s9
	s_lshl_b64 s[28:29], s[2:3], 17
	s_add_u32 s33, s14, s28
	s_addc_u32 s36, s15, s29
	s_and_b32 s0, s33, 7
	s_add_u32 s37, s12, s28
	s_addc_u32 s38, s13, s29
	v_rcp_f64_e32 v[7:8], v[5:6]
	s_add_u32 s39, s10, s28
	s_addc_u32 s40, s11, s29
	s_or_b32 s2, s39, s37
	s_and_b32 s2, s2, 7
	s_cmp_lg_u32 s2, 0
	s_cselect_b64 s[2:3], -1, 0
	s_and_b32 s6, s18, 3
	s_or_b64 s[0:1], s[0:1], s[6:7]
	s_cmp_lg_u64 s[0:1], 0
	s_cselect_b64 s[0:1], -1, 0
	s_or_b64 s[0:1], s[2:3], s[0:1]
	v_fma_f64 v[9:10], -v[5:6], v[7:8], 1.0
	v_fma_f64 v[7:8], v[7:8], v[9:10], v[7:8]
	v_div_scale_f64 v[9:10], vcc, v[1:2], v[3:4], v[1:2]
	v_fma_f64 v[11:12], -v[5:6], v[7:8], 1.0
	v_fma_f64 v[7:8], v[7:8], v[11:12], v[7:8]
	v_mul_f64 v[11:12], v[9:10], v[7:8]
	v_fma_f64 v[5:6], -v[5:6], v[11:12], v[9:10]
	v_div_fmas_f64 v[5:6], v[5:6], v[7:8], v[11:12]
	s_andn2_b64 vcc, exec, s[0:1]
	s_mov_b64 s[0:1], -1
	v_div_fixup_f64 v[2:3], v[5:6], v[3:4], v[1:2]
	s_cbranch_vccz .LBB2_22
; %bb.6:
	v_mov_b32_e32 v4, 0x10000
	v_mov_b32_e32 v5, 0
	v_cmp_lt_i64_e32 vcc, s[16:17], v[4:5]
	v_mov_b32_e32 v5, 0
	s_and_b64 s[0:1], vcc, exec
	s_cselect_b32 s19, s17, 0
	s_cselect_b32 s18, s16, 0x10000
	v_lshlrev_b32_e32 v4, 2, v0
	v_cmp_gt_i64_e32 vcc, s[18:19], v[4:5]
	s_and_saveexec_b64 s[30:31], vcc
	s_cbranch_execz .LBB2_21
; %bb.7:
	v_cmp_neq_f64_e64 s[0:1], s[22:23], 0
	s_load_dword s6, s[4:5], 0xe1c
	s_cmp_lg_u64 s[24:25], 0
	s_cselect_b64 s[2:3], -1, 0
	v_mov_b32_e32 v1, v5
	v_cndmask_b32_e64 v6, 0, 1, s[2:3]
	s_waitcnt lgkmcnt(0)
	s_and_b32 s41, s6, 0xffff
	v_cmp_ne_u32_e64 s[2:3], 1, v6
	v_mov_b32_e32 v7, v1
	s_mov_b64 s[34:35], 0
	v_lshlrev_b32_e32 v4, 3, v0
	s_lshl_b32 s42, s41, 3
	s_mov_b32 s43, 0xf800000
	v_mov_b32_e32 v22, 0x260
	s_movk_i32 s44, 0x1ff
	s_movk_i32 s45, 0xffe
	;; [unrolled: 1-line block ×3, first 2 shown]
	s_mov_b32 s47, 0x8000
	s_mov_b32 s48, 0x5040100
	v_mov_b32_e32 v23, 0x7c00
	v_mov_b32_e32 v24, 0x7e00
	;; [unrolled: 1-line block ×3, first 2 shown]
	s_branch .LBB2_9
.LBB2_8:                                ;   in Loop: Header=BB2_9 Depth=1
	v_cvt_f16_f32_e32 v10, v29
	v_cvt_f16_f32_e32 v12, v30
	v_add_co_u32_e32 v6, vcc, s41, v6
	s_add_u32 s39, s39, s42
	v_addc_co_u32_e32 v7, vcc, 0, v7, vcc
	s_addc_u32 s40, s40, 0
	v_cvt_f16_f32_e32 v1, v28
	v_cvt_f16_f32_e32 v11, v31
	v_pack_b32_f16 v10, v12, v10
	v_lshlrev_b64 v[12:13], 2, v[6:7]
	s_add_u32 s33, s33, s42
	s_addc_u32 s36, s36, 0
	s_add_u32 s37, s37, s42
	v_cmp_le_i64_e32 vcc, s[18:19], v[12:13]
	s_addc_u32 s38, s38, 0
	v_pack_b32_f16 v11, v1, v11
	s_or_b64 s[34:35], vcc, s[34:35]
	global_store_dwordx2 v[8:9], v[10:11], off
	s_andn2_b64 exec, exec, s[34:35]
	s_cbranch_execz .LBB2_21
.LBB2_9:                                ; =>This Inner Loop Header: Depth=1
	v_mov_b32_e32 v1, s36
	v_add_co_u32_e32 v10, vcc, s33, v4
	v_addc_co_u32_e32 v11, vcc, 0, v1, vcc
	v_mov_b32_e32 v1, s38
	v_add_co_u32_e32 v12, vcc, s37, v4
	v_addc_co_u32_e32 v13, vcc, 0, v1, vcc
	global_load_dwordx2 v[16:17], v[12:13], off
	v_mov_b32_e32 v1, s40
	v_add_co_u32_e32 v8, vcc, s39, v4
	v_addc_co_u32_e32 v9, vcc, 0, v1, vcc
	global_load_dwordx2 v[18:19], v[10:11], off
	global_load_dwordx2 v[14:15], v[8:9], off
	s_and_b64 vcc, exec, s[2:3]
	s_waitcnt vmcnt(2)
	v_cvt_f32_f16_e32 v1, v16
	s_cbranch_vccnz .LBB2_11
; %bb.10:                               ;   in Loop: Header=BB2_9 Depth=1
	global_load_dword v20, v5, s[24:25]
	s_waitcnt vmcnt(0)
	v_div_scale_f32 v21, s[6:7], v20, v20, v1
	v_div_scale_f32 v25, vcc, v1, v20, v1
	v_rcp_f32_e32 v26, v21
	v_fma_f32 v27, -v21, v26, 1.0
	v_fmac_f32_e32 v26, v27, v26
	v_mul_f32_e32 v27, v25, v26
	v_fma_f32 v28, -v21, v27, v25
	v_fmac_f32_e32 v27, v28, v26
	v_fma_f32 v21, -v21, v27, v25
	v_div_fmas_f32 v21, v21, v26, v27
	v_div_fixup_f32 v1, v21, v20, v1
.LBB2_11:                               ;   in Loop: Header=BB2_9 Depth=1
	v_cvt_f32_f16_sdwa v25, v16 dst_sel:DWORD dst_unused:UNUSED_PAD src0_sel:WORD_1
	s_and_b64 vcc, exec, s[2:3]
	s_cbranch_vccnz .LBB2_13
; %bb.12:                               ;   in Loop: Header=BB2_9 Depth=1
	global_load_dword v16, v5, s[24:25]
	s_waitcnt vmcnt(0)
	v_div_scale_f32 v20, s[6:7], v16, v16, v25
	v_div_scale_f32 v21, vcc, v25, v16, v25
	v_rcp_f32_e32 v26, v20
	v_fma_f32 v27, -v20, v26, 1.0
	v_fmac_f32_e32 v26, v27, v26
	v_mul_f32_e32 v27, v21, v26
	v_fma_f32 v28, -v20, v27, v21
	v_fmac_f32_e32 v27, v28, v26
	v_fma_f32 v20, -v20, v27, v21
	v_div_fmas_f32 v20, v20, v26, v27
	v_div_fixup_f32 v25, v20, v16, v25
.LBB2_13:                               ;   in Loop: Header=BB2_9 Depth=1
	v_cvt_f32_f16_e32 v26, v17
	s_and_b64 vcc, exec, s[2:3]
	s_cbranch_vccnz .LBB2_15
; %bb.14:                               ;   in Loop: Header=BB2_9 Depth=1
	global_load_dword v16, v5, s[24:25]
	s_waitcnt vmcnt(0)
	v_div_scale_f32 v20, s[6:7], v16, v16, v26
	v_div_scale_f32 v21, vcc, v26, v16, v26
	v_rcp_f32_e32 v27, v20
	v_fma_f32 v28, -v20, v27, 1.0
	v_fmac_f32_e32 v27, v28, v27
	v_mul_f32_e32 v28, v21, v27
	v_fma_f32 v29, -v20, v28, v21
	v_fmac_f32_e32 v28, v29, v27
	v_fma_f32 v20, -v20, v28, v21
	v_div_fmas_f32 v20, v20, v27, v28
	v_div_fixup_f32 v26, v20, v16, v26
.LBB2_15:                               ;   in Loop: Header=BB2_9 Depth=1
	v_cvt_f32_f16_sdwa v27, v17 dst_sel:DWORD dst_unused:UNUSED_PAD src0_sel:WORD_1
	s_and_b64 vcc, exec, s[2:3]
	s_cbranch_vccnz .LBB2_17
; %bb.16:                               ;   in Loop: Header=BB2_9 Depth=1
	global_load_dword v16, v5, s[24:25]
	s_waitcnt vmcnt(0)
	v_div_scale_f32 v17, s[6:7], v16, v16, v27
	v_div_scale_f32 v20, vcc, v27, v16, v27
	v_rcp_f32_e32 v21, v17
	v_fma_f32 v28, -v17, v21, 1.0
	v_fmac_f32_e32 v21, v28, v21
	v_mul_f32_e32 v28, v20, v21
	v_fma_f32 v29, -v17, v28, v20
	v_fmac_f32_e32 v28, v29, v21
	v_fma_f32 v17, -v17, v28, v20
	v_div_fmas_f32 v17, v17, v21, v28
	v_div_fixup_f32 v27, v17, v16, v27
.LBB2_17:                               ;   in Loop: Header=BB2_9 Depth=1
	s_waitcnt vmcnt(1)
	v_cvt_f32_f16_e32 v16, v19
	v_cndmask_b32_e64 v28, v26, -v26, s[26:27]
	v_cvt_f64_f32_e32 v[20:21], v28
	v_cvt_f32_f16_sdwa v30, v18 dst_sel:DWORD dst_unused:UNUSED_PAD src0_sel:WORD_1
	v_cvt_f64_f32_e32 v[16:17], v16
	v_cndmask_b32_e64 v29, v25, -v25, s[26:27]
	v_cvt_f32_f16_e32 v38, v18
	v_cvt_f32_f16_sdwa v46, v19 dst_sel:DWORD dst_unused:UNUSED_PAD src0_sel:WORD_1
	v_fma_f64 v[20:21], s[22:23], v[16:17], v[20:21]
	v_cvt_f64_f32_e32 v[18:19], v29
	v_cvt_f64_f32_e32 v[32:33], v30
	v_cndmask_b32_e64 v48, v1, -v1, s[26:27]
	v_cvt_f64_f32_e32 v[30:31], v48
	v_cndmask_b32_e64 v60, v27, -v27, s[26:27]
	v_fma_f64 v[18:19], s[22:23], v[32:33], v[18:19]
	v_cvt_f32_f64_e32 v20, v[20:21]
	v_cndmask_b32_e64 v20, v28, v20, s[0:1]
	s_waitcnt vmcnt(0)
	v_fma_mix_f32 v28, v20, v20, v15 op_sel_hi:[0,0,1]
	v_mul_f32_e32 v21, 0x4f800000, v28
	v_cmp_gt_f32_e32 vcc, s43, v28
	v_cndmask_b32_e32 v21, v28, v21, vcc
	v_sqrt_f32_e32 v36, v21
	v_cvt_f64_f32_e32 v[34:35], v20
	v_cvt_f32_f64_e32 v18, v[18:19]
	v_add_u32_e32 v20, -1, v36
	v_add_u32_e32 v37, 1, v36
	v_fma_f32 v39, -v20, v36, v21
	v_fma_f32 v40, -v37, v36, v21
	v_cmp_ge_f32_e64 s[6:7], 0, v39
	v_cndmask_b32_e64 v20, v36, v20, s[6:7]
	v_cmp_lt_f32_e64 s[6:7], 0, v40
	v_cndmask_b32_e64 v20, v20, v37, s[6:7]
	v_mul_f32_e32 v36, 0x37800000, v20
	v_cndmask_b32_e32 v20, v20, v36, vcc
	v_cmp_class_f32_e32 vcc, v21, v22
	v_cndmask_b32_e32 v20, v20, v21, vcc
	v_cvt_f64_f32_e32 v[36:37], v20
	v_mul_f64 v[34:35], v[2:3], v[34:35]
	v_cvt_f64_f32_e32 v[20:21], v38
	v_cndmask_b32_e64 v42, v29, v18, s[0:1]
	v_add_f64 v[36:37], s[20:21], v[36:37]
	v_fma_mix_f32 v29, v42, v42, v14 op_sel:[0,0,1] op_sel_hi:[0,0,1]
	v_mul_f32_e32 v18, 0x4f800000, v29
	v_cmp_gt_f32_e32 vcc, s43, v29
	v_cndmask_b32_e32 v43, v29, v18, vcc
	v_sqrt_f32_e32 v44, v43
	v_fma_f64 v[18:19], s[22:23], v[20:21], v[30:31]
	v_cvt_f64_f32_e32 v[30:31], v42
	v_div_scale_f64 v[38:39], s[6:7], v[36:37], v[36:37], v[34:35]
	v_add_u32_e32 v42, -1, v44
	v_add_u32_e32 v45, 1, v44
	v_fma_f32 v47, -v42, v44, v43
	v_fma_f32 v49, -v45, v44, v43
	v_cmp_ge_f32_e64 s[6:7], 0, v47
	v_cndmask_b32_e64 v42, v44, v42, s[6:7]
	v_cmp_lt_f32_e64 s[6:7], 0, v49
	v_cndmask_b32_e64 v42, v42, v45, s[6:7]
	v_mul_f32_e32 v44, 0x37800000, v42
	v_cndmask_b32_e32 v42, v42, v44, vcc
	v_cmp_class_f32_e32 vcc, v43, v22
	v_cndmask_b32_e32 v44, v42, v43, vcc
	v_cvt_f64_f32_e32 v[44:45], v44
	v_cvt_f32_f64_e32 v49, v[18:19]
	v_rcp_f64_e32 v[42:43], v[38:39]
	v_cvt_f64_f32_e32 v[18:19], v46
	v_mul_f64 v[46:47], v[2:3], v[30:31]
	v_add_f64 v[44:45], s[20:21], v[44:45]
	v_cndmask_b32_e64 v31, v48, v49, s[0:1]
	v_fma_mix_f32 v30, v31, v31, v14 op_sel_hi:[0,0,1]
	v_mul_f32_e32 v14, 0x4f800000, v30
	v_cmp_gt_f32_e32 vcc, s43, v30
	v_cndmask_b32_e32 v14, v30, v14, vcc
	v_sqrt_f32_e32 v54, v14
	v_cvt_f64_f32_e32 v[50:51], v31
	v_div_scale_f64 v[48:49], s[6:7], v[44:45], v[44:45], v[46:47]
	v_add_u32_e32 v31, -1, v54
	v_add_u32_e32 v55, 1, v54
	v_fma_f32 v56, -v31, v54, v14
	v_fma_f64 v[52:53], -v[38:39], v[42:43], 1.0
	v_fma_f32 v57, -v55, v54, v14
	v_cmp_ge_f32_e64 s[6:7], 0, v56
	v_cndmask_b32_e64 v31, v54, v31, s[6:7]
	v_cmp_lt_f32_e64 s[6:7], 0, v57
	v_cndmask_b32_e64 v31, v31, v55, s[6:7]
	v_cvt_f64_f32_e32 v[40:41], v60
	v_mul_f64 v[50:51], v[2:3], v[50:51]
	v_fma_f64 v[42:43], v[42:43], v[52:53], v[42:43]
	v_mul_f32_e32 v52, 0x37800000, v31
	v_cndmask_b32_e32 v31, v31, v52, vcc
	v_cmp_class_f32_e32 vcc, v14, v22
	v_rcp_f64_e32 v[52:53], v[48:49]
	v_cndmask_b32_e32 v14, v31, v14, vcc
	v_div_scale_f64 v[54:55], vcc, v[34:35], v[36:37], v[34:35]
	v_fma_f64 v[56:57], -v[38:39], v[42:43], 1.0
	v_fma_f64 v[40:41], s[22:23], v[18:19], v[40:41]
	v_cvt_f64_f32_e32 v[58:59], v14
	v_add_f64 v[58:59], s[20:21], v[58:59]
	v_fma_f64 v[42:43], v[42:43], v[56:57], v[42:43]
	v_cvt_f32_f64_e32 v14, v[40:41]
	v_fma_f64 v[56:57], -v[48:49], v[52:53], 1.0
	v_cndmask_b32_e64 v62, v60, v14, s[0:1]
	v_div_scale_f64 v[40:41], s[6:7], v[58:59], v[58:59], v[50:51]
	v_mul_f64 v[60:61], v[54:55], v[42:43]
	v_fma_mix_f32 v31, v62, v62, v15 op_sel:[0,0,1] op_sel_hi:[0,0,1]
	v_mul_f32_e32 v14, 0x4f800000, v31
	v_cmp_gt_f32_e64 s[6:7], s43, v31
	v_cndmask_b32_e64 v64, v31, v14, s[6:7]
	v_fma_f64 v[14:15], v[52:53], v[56:57], v[52:53]
	v_cvt_f64_f32_e32 v[52:53], v62
	v_sqrt_f32_e32 v65, v64
	v_fma_f64 v[38:39], -v[38:39], v[60:61], v[54:55]
	v_div_scale_f64 v[54:55], s[8:9], v[46:47], v[44:45], v[46:47]
	v_add_u32_e32 v66, -1, v65
	v_fma_f64 v[62:63], -v[48:49], v[14:15], 1.0
	v_rcp_f64_e32 v[56:57], v[40:41]
	v_div_fmas_f64 v[38:39], v[38:39], v[42:43], v[60:61]
	v_add_u32_e32 v42, 1, v65
	v_fma_f32 v43, -v66, v65, v64
	v_fma_f32 v60, -v42, v65, v64
	v_cmp_ge_f32_e32 vcc, 0, v43
	v_fma_f64 v[14:15], v[14:15], v[62:63], v[14:15]
	v_cndmask_b32_e32 v43, v65, v66, vcc
	v_cmp_lt_f32_e32 vcc, 0, v60
	v_cndmask_b32_e32 v42, v43, v42, vcc
	v_mul_f32_e32 v43, 0x37800000, v42
	v_cndmask_b32_e64 v42, v42, v43, s[6:7]
	v_cmp_class_f32_e32 vcc, v64, v22
	v_cndmask_b32_e32 v60, v42, v64, vcc
	v_mul_f64 v[62:63], v[54:55], v[14:15]
	v_cvt_f64_f32_e32 v[60:61], v60
	v_fma_f64 v[42:43], -v[40:41], v[56:57], 1.0
	v_div_fixup_f64 v[34:35], v[38:39], v[36:37], v[34:35]
	v_mul_f64 v[36:37], v[2:3], v[52:53]
	v_add_f64 v[38:39], s[20:21], v[60:61]
	s_mov_b64 vcc, s[8:9]
	v_fma_f64 v[48:49], -v[48:49], v[62:63], v[54:55]
	v_fma_f64 v[42:43], v[56:57], v[42:43], v[56:57]
	v_add_f64 v[16:17], v[16:17], -v[34:35]
	v_div_scale_f64 v[34:35], s[6:7], v[38:39], v[38:39], v[36:37]
	v_div_fmas_f64 v[14:15], v[48:49], v[14:15], v[62:63]
	v_fma_f64 v[52:53], -v[40:41], v[42:43], 1.0
	v_and_or_b32 v16, v17, s44, v16
	v_cmp_ne_u32_e32 vcc, 0, v16
	v_lshrrev_b32_e32 v48, 8, v17
	v_bfe_u32 v49, v17, 20, 11
	v_cndmask_b32_e64 v16, 0, 1, vcc
	v_sub_u32_e32 v54, 0x3f1, v49
	v_and_or_b32 v16, v48, s45, v16
	v_add_u32_e32 v55, 0xfffffc10, v49
	v_med3_i32 v48, v54, 0, 13
	v_or_b32_e32 v49, 0x1000, v16
	v_lshrrev_b32_e32 v56, v48, v49
	v_lshlrev_b32_e32 v48, v48, v56
	v_cmp_ne_u32_e32 vcc, v48, v49
	v_cndmask_b32_e64 v48, 0, 1, vcc
	v_lshl_or_b32 v54, v55, 12, v16
	v_or_b32_e32 v48, v56, v48
	v_cmp_gt_i32_e32 vcc, 1, v55
	v_cndmask_b32_e32 v54, v54, v48, vcc
	v_and_b32_e32 v56, 7, v54
	v_cmp_lt_i32_e32 vcc, 5, v56
	v_cndmask_b32_e64 v57, 0, 1, vcc
	v_div_scale_f64 v[48:49], vcc, v[50:51], v[58:59], v[50:51]
	v_div_fixup_f64 v[14:15], v[14:15], v[44:45], v[46:47]
	v_rcp_f64_e32 v[44:45], v[34:35]
	v_fma_f64 v[42:43], v[42:43], v[52:53], v[42:43]
	v_cmp_eq_u32_e64 s[6:7], 3, v56
	v_cndmask_b32_e64 v56, 0, 1, s[6:7]
	v_or_b32_e32 v46, v56, v57
	v_lshrrev_b32_e32 v47, 2, v54
	v_add_u32_e32 v46, v47, v46
	v_cmp_gt_i32_e64 s[6:7], 31, v55
	v_cndmask_b32_e64 v46, v23, v46, s[6:7]
	v_cmp_ne_u32_e64 s[6:7], 0, v16
	v_cndmask_b32_e64 v16, v23, v24, s[6:7]
	v_cmp_eq_u32_e64 s[6:7], s46, v55
	v_add_f64 v[14:15], v[32:33], -v[14:15]
	v_cndmask_b32_e64 v32, v46, v16, s[6:7]
	v_lshrrev_b32_e32 v33, 16, v17
	v_mul_f64 v[16:17], v[48:49], v[42:43]
	v_and_or_b32 v46, v33, s47, v32
	v_fma_f64 v[32:33], -v[34:35], v[44:45], 1.0
	v_and_or_b32 v14, v15, s44, v14
	v_cmp_ne_u32_e64 s[6:7], 0, v14
	v_cndmask_b32_e64 v14, 0, 1, s[6:7]
	v_fma_f64 v[40:41], -v[40:41], v[16:17], v[48:49]
	v_lshrrev_b32_e32 v47, 8, v15
	v_fma_f64 v[32:33], v[44:45], v[32:33], v[44:45]
	v_bfe_u32 v48, v15, 20, 11
	v_and_or_b32 v14, v47, s45, v14
	v_sub_u32_e32 v49, 0x3f1, v48
	v_or_b32_e32 v47, 0x1000, v14
	v_med3_i32 v44, v49, 0, 13
	v_lshrrev_b32_e32 v45, v44, v47
	v_div_fmas_f64 v[16:17], v[40:41], v[42:43], v[16:17]
	v_lshlrev_b32_e32 v40, v44, v45
	v_cmp_ne_u32_e32 vcc, v40, v47
	v_cndmask_b32_e64 v44, 0, 1, vcc
	v_fma_f64 v[40:41], -v[34:35], v[32:33], 1.0
	v_div_scale_f64 v[42:43], vcc, v[36:37], v[38:39], v[36:37]
	v_or_b32_e32 v44, v45, v44
	v_add_u32_e32 v45, 0xfffffc10, v48
	v_lshl_or_b32 v47, v45, 12, v14
	v_cmp_gt_i32_e64 s[6:7], 1, v45
	v_cndmask_b32_e64 v44, v47, v44, s[6:7]
	v_fma_f64 v[32:33], v[32:33], v[40:41], v[32:33]
	v_and_b32_e32 v47, 7, v44
	v_cmp_lt_i32_e64 s[6:7], 5, v47
	v_cndmask_b32_e64 v40, 0, 1, s[6:7]
	v_cmp_eq_u32_e64 s[6:7], 3, v47
	v_cndmask_b32_e64 v41, 0, 1, s[6:7]
	v_div_fixup_f64 v[16:17], v[16:17], v[58:59], v[50:51]
	v_or_b32_e32 v40, v41, v40
	v_lshrrev_b32_e32 v41, 2, v44
	v_add_u32_e32 v44, v41, v40
	v_mul_f64 v[40:41], v[42:43], v[32:33]
	v_cmp_gt_i32_e64 s[6:7], 31, v45
	v_cndmask_b32_e64 v44, v23, v44, s[6:7]
	v_cmp_ne_u32_e64 s[6:7], 0, v14
	v_add_f64 v[16:17], v[20:21], -v[16:17]
	v_cndmask_b32_e64 v14, v23, v24, s[6:7]
	v_cmp_eq_u32_e64 s[6:7], s46, v45
	v_cndmask_b32_e64 v14, v44, v14, s[6:7]
	v_fma_f64 v[20:21], -v[34:35], v[40:41], v[42:43]
	v_lshrrev_b32_e32 v15, 16, v15
	v_and_or_b32 v34, v15, s47, v14
	v_and_or_b32 v14, v17, s44, v16
	v_cmp_ne_u32_e64 s[6:7], 0, v14
	v_cndmask_b32_e64 v16, 0, 1, s[6:7]
	v_lshrrev_b32_e32 v35, 8, v17
	v_div_fmas_f64 v[14:15], v[20:21], v[32:33], v[40:41]
	v_bfe_u32 v21, v17, 20, 11
	v_and_or_b32 v16, v35, s45, v16
	v_sub_u32_e32 v32, 0x3f1, v21
	v_or_b32_e32 v20, 0x1000, v16
	v_med3_i32 v32, v32, 0, 13
	v_lshrrev_b32_e32 v33, v32, v20
	v_lshlrev_b32_e32 v32, v32, v33
	v_cmp_ne_u32_e32 vcc, v32, v20
	v_cndmask_b32_e64 v20, 0, 1, vcc
	v_add_u32_e32 v21, 0xfffffc10, v21
	v_or_b32_e32 v20, v33, v20
	v_lshl_or_b32 v32, v21, 12, v16
	v_cmp_gt_i32_e32 vcc, 1, v21
	v_cndmask_b32_e32 v20, v32, v20, vcc
	v_and_b32_e32 v32, 7, v20
	v_div_fixup_f64 v[14:15], v[14:15], v[38:39], v[36:37]
	v_cmp_lt_i32_e32 vcc, 5, v32
	v_cndmask_b32_e64 v33, 0, 1, vcc
	v_cmp_eq_u32_e32 vcc, 3, v32
	v_cndmask_b32_e64 v32, 0, 1, vcc
	v_or_b32_e32 v32, v32, v33
	v_lshrrev_b32_e32 v20, 2, v20
	v_add_u32_e32 v20, v20, v32
	v_add_f64 v[14:15], v[18:19], -v[14:15]
	v_cmp_gt_i32_e32 vcc, 31, v21
	v_cndmask_b32_e32 v18, v23, v20, vcc
	v_cmp_ne_u32_e32 vcc, 0, v16
	v_cndmask_b32_e32 v16, v23, v24, vcc
	v_cmp_eq_u32_e32 vcc, s46, v21
	v_cndmask_b32_e32 v16, v18, v16, vcc
	v_lshrrev_b32_e32 v17, 16, v17
	v_and_or_b32 v14, v15, s44, v14
	v_cmp_ne_u32_e32 vcc, 0, v14
	v_and_or_b32 v16, v17, s47, v16
	v_cndmask_b32_e64 v14, 0, 1, vcc
	v_lshrrev_b32_e32 v17, 8, v15
	v_bfe_u32 v18, v15, 20, 11
	v_and_or_b32 v14, v17, s45, v14
	v_sub_u32_e32 v19, 0x3f1, v18
	v_or_b32_e32 v17, 0x1000, v14
	v_med3_i32 v19, v19, 0, 13
	v_lshrrev_b32_e32 v20, v19, v17
	v_lshlrev_b32_e32 v19, v19, v20
	v_cmp_ne_u32_e32 vcc, v19, v17
	v_cndmask_b32_e64 v17, 0, 1, vcc
	v_add_u32_e32 v18, 0xfffffc10, v18
	v_or_b32_e32 v17, v20, v17
	v_lshl_or_b32 v19, v18, 12, v14
	v_cmp_gt_i32_e32 vcc, 1, v18
	v_cndmask_b32_e32 v17, v19, v17, vcc
	v_and_b32_e32 v19, 7, v17
	v_cmp_lt_i32_e32 vcc, 5, v19
	v_cndmask_b32_e64 v20, 0, 1, vcc
	v_cmp_eq_u32_e32 vcc, 3, v19
	v_cndmask_b32_e64 v19, 0, 1, vcc
	v_or_b32_e32 v19, v19, v20
	v_lshrrev_b32_e32 v17, 2, v17
	v_add_u32_e32 v17, v17, v19
	v_cmp_gt_i32_e32 vcc, 31, v18
	v_cndmask_b32_e32 v17, v23, v17, vcc
	v_cmp_ne_u32_e32 vcc, 0, v14
	v_cndmask_b32_e32 v14, v23, v24, vcc
	v_cmp_eq_u32_e32 vcc, s46, v18
	v_cndmask_b32_e32 v14, v17, v14, vcc
	v_lshrrev_b32_e32 v15, 16, v15
	v_and_or_b32 v14, v15, s47, v14
	s_and_b64 vcc, exec, s[2:3]
	v_perm_b32 v15, v14, v46, s48
	v_perm_b32 v14, v34, v16, s48
	s_cbranch_vccnz .LBB2_19
; %bb.18:                               ;   in Loop: Header=BB2_9 Depth=1
	v_cvt_f16_f32_e32 v16, v26
	v_cvt_f16_f32_e32 v18, v25
	;; [unrolled: 1-line block ×4, first 2 shown]
	global_store_dwordx2 v[10:11], v[14:15], off
	v_pack_b32_f16 v17, v16, v17
	v_pack_b32_f16 v16, v1, v18
	global_store_dwordx2 v[12:13], v[16:17], off
	s_cbranch_execnz .LBB2_8
	s_branch .LBB2_20
.LBB2_19:                               ;   in Loop: Header=BB2_9 Depth=1
.LBB2_20:                               ;   in Loop: Header=BB2_9 Depth=1
	global_store_dwordx2 v[10:11], v[14:15], off
	s_branch .LBB2_8
.LBB2_21:
	s_or_b64 exec, exec, s[30:31]
	s_mov_b64 s[0:1], 0
.LBB2_22:
	s_andn2_b64 vcc, exec, s[0:1]
	s_cbranch_vccnz .LBB2_76
; %bb.23:
	v_cmp_lt_i64_e64 s[0:1], s[16:17], 1
	s_and_b64 vcc, exec, s[0:1]
	s_cbranch_vccnz .LBB2_76
; %bb.24:
	v_mov_b32_e32 v6, 0x10000
	s_load_dword s2, s[4:5], 0xe1c
	v_mov_b32_e32 v7, 0
	v_cmp_lt_i64_e32 vcc, s[16:17], v[6:7]
	v_lshlrev_b32_e32 v4, 1, v0
	s_and_b64 s[0:1], vcc, exec
	v_cmp_lt_u64_e32 vcc, s[16:17], v[6:7]
	s_cselect_b32 s31, s17, 0
	s_cselect_b32 s30, s16, 0x10000
	s_waitcnt lgkmcnt(0)
	s_and_b32 s4, s2, 0xffff
	v_mov_b32_e32 v5, 0
	s_and_b64 s[0:1], vcc, exec
	v_mov_b32_e32 v6, s15
	v_add_co_u32_e32 v1, vcc, s14, v4
	v_addc_co_u32_e32 v14, vcc, 0, v6, vcc
	v_mad_u64_u32 v[6:7], s[2:3], s4, 6, v[4:5]
	v_mov_b32_e32 v9, s15
	s_cselect_b32 s35, s17, 0
	v_add_co_u32_e32 v15, vcc, s14, v6
	v_addc_co_u32_e32 v16, vcc, v9, v7, vcc
	v_mov_b32_e32 v9, s13
	v_add_co_u32_e32 v17, vcc, s12, v6
	s_cselect_b32 s34, s16, 0x10000
	s_lshl_b32 s5, s4, 1
	v_addc_co_u32_e32 v18, vcc, v9, v7, vcc
	s_cmp_lg_u64 s[24:25], 0
	v_mov_b32_e32 v9, s11
	v_add_co_u32_e32 v19, vcc, s10, v6
	s_cselect_b64 s[38:39], -1, 0
	s_lshl_b32 s33, s4, 2
	v_addc_co_u32_e32 v20, vcc, v9, v7, vcc
	v_add_co_u32_e32 v6, vcc, s33, v4
	v_addc_co_u32_e64 v7, s[2:3], 0, 0, vcc
	v_mov_b32_e32 v9, s15
	v_add_co_u32_e32 v21, vcc, s14, v6
	v_addc_co_u32_e32 v22, vcc, v9, v7, vcc
	v_mov_b32_e32 v9, s13
	v_add_co_u32_e32 v23, vcc, s12, v6
	v_addc_co_u32_e32 v24, vcc, v9, v7, vcc
	;; [unrolled: 3-line block ×5, first 2 shown]
	v_add_co_u32_e32 v30, vcc, s4, v0
	v_lshlrev_b32_e32 v6, 1, v30
	v_addc_co_u32_e64 v31, s[2:3], 0, 0, vcc
	v_mov_b32_e32 v7, s15
	v_add_co_u32_e32 v32, vcc, s14, v6
	v_cmp_neq_f64_e64 s[0:1], s[22:23], 0
	v_addc_co_u32_e32 v33, vcc, 0, v7, vcc
	v_mov_b32_e32 v7, s13
	v_add_co_u32_e32 v34, vcc, s12, v6
	v_addc_co_u32_e32 v35, vcc, 0, v7, vcc
	v_mov_b32_e32 v7, s11
	v_add_co_u32_e32 v36, vcc, s10, v6
	s_mul_i32 s6, s4, 3
	v_addc_co_u32_e32 v37, vcc, 0, v7, vcc
	v_add_co_u32_e32 v38, vcc, s6, v0
	v_addc_co_u32_e64 v39, s[2:3], 0, 0, vcc
	v_add_co_u32_e32 v40, vcc, s5, v0
	s_mov_b64 s[36:37], 0
	s_lshl_b32 s42, s4, 3
	s_mov_b32 s43, 0xf800000
	s_movk_i32 s44, 0x1ff
	s_movk_i32 s45, 0xffe
	;; [unrolled: 1-line block ×3, first 2 shown]
	s_mov_b32 s47, 0x8000
	v_addc_co_u32_e64 v41, s[2:3], 0, 0, vcc
	v_mov_b32_e32 v42, 0x260
	v_mov_b32_e32 v43, 0x7c00
	;; [unrolled: 1-line block ×3, first 2 shown]
	s_branch .LBB2_26
.LBB2_25:                               ;   in Loop: Header=BB2_26 Depth=1
	s_or_b64 exec, exec, s[2:3]
	v_add_co_u32_e32 v1, vcc, s42, v1
	v_addc_co_u32_e32 v14, vcc, 0, v14, vcc
	v_add_co_u32_e32 v27, vcc, s42, v27
	v_addc_co_u32_e32 v28, vcc, 0, v28, vcc
	;; [unrolled: 2-line block ×10, first 2 shown]
	s_add_u32 s36, s36, s33
	v_add_co_u32_e32 v34, vcc, s42, v34
	v_mov_b32_e32 v6, s30
	s_addc_u32 s37, s37, 0
	v_addc_co_u32_e32 v35, vcc, 0, v35, vcc
	v_mov_b32_e32 v7, s31
	v_cmp_ge_i64_e32 vcc, s[36:37], v[6:7]
	v_add_co_u32_e64 v36, s[2:3], s42, v36
	v_addc_co_u32_e64 v37, s[2:3], 0, v37, s[2:3]
	s_cbranch_vccnz .LBB2_76
.LBB2_26:                               ; =>This Inner Loop Header: Depth=1
	v_mov_b32_e32 v7, s37
	v_add_co_u32_e32 v6, vcc, s36, v0
	v_addc_co_u32_e32 v7, vcc, 0, v7, vcc
	v_cmp_gt_u64_e64 s[2:3], s[34:35], v[6:7]
	v_mov_b32_e32 v12, 0
	v_mov_b32_e32 v13, 0
	;; [unrolled: 1-line block ×3, first 2 shown]
	s_and_saveexec_b64 s[4:5], s[2:3]
	s_cbranch_execz .LBB2_28
; %bb.27:                               ;   in Loop: Header=BB2_26 Depth=1
	v_mov_b32_e32 v8, s29
	v_add_co_u32_e32 v6, vcc, s28, v1
	v_addc_co_u32_e32 v7, vcc, v14, v8, vcc
	global_load_ushort v9, v[6:7], off
	v_add_co_u32_e32 v6, vcc, s28, v27
	v_addc_co_u32_e32 v7, vcc, v28, v8, vcc
	global_load_ushort v6, v[6:7], off
	s_waitcnt vmcnt(1)
	v_cvt_f32_f16_e32 v7, v9
	v_cvt_f64_f32_e32 v[12:13], v7
	s_waitcnt vmcnt(0)
	v_cvt_f32_f16_e32 v46, v6
.LBB2_28:                               ;   in Loop: Header=BB2_26 Depth=1
	s_or_b64 exec, exec, s[4:5]
	v_mov_b32_e32 v48, 0
	v_mov_b32_e32 v45, 0
	s_and_saveexec_b64 s[4:5], s[2:3]
	s_cbranch_execz .LBB2_30
; %bb.29:                               ;   in Loop: Header=BB2_26 Depth=1
	v_mov_b32_e32 v7, s29
	v_add_co_u32_e32 v6, vcc, s28, v4
	v_addc_co_u32_e32 v7, vcc, v29, v7, vcc
	global_load_ushort v6, v[6:7], off
	s_waitcnt vmcnt(0)
	v_cvt_f32_f16_e32 v45, v6
.LBB2_30:                               ;   in Loop: Header=BB2_26 Depth=1
	s_or_b64 exec, exec, s[4:5]
	v_mov_b32_e32 v7, s37
	v_add_co_u32_e32 v6, vcc, s36, v30
	v_addc_co_u32_e32 v7, vcc, v31, v7, vcc
	v_cmp_gt_u64_e64 s[4:5], s[34:35], v[6:7]
	v_mov_b32_e32 v10, 0
	v_mov_b32_e32 v11, 0
	s_and_saveexec_b64 s[6:7], s[4:5]
	s_cbranch_execz .LBB2_32
; %bb.31:                               ;   in Loop: Header=BB2_26 Depth=1
	v_mov_b32_e32 v8, s29
	v_add_co_u32_e32 v6, vcc, s28, v32
	v_addc_co_u32_e32 v7, vcc, v33, v8, vcc
	global_load_ushort v9, v[6:7], off
	v_add_co_u32_e32 v6, vcc, s28, v34
	v_addc_co_u32_e32 v7, vcc, v35, v8, vcc
	global_load_ushort v6, v[6:7], off
	s_waitcnt vmcnt(1)
	v_cvt_f32_f16_e32 v7, v9
	v_cvt_f64_f32_e32 v[10:11], v7
	s_waitcnt vmcnt(0)
	v_cvt_f32_f16_e32 v48, v6
.LBB2_32:                               ;   in Loop: Header=BB2_26 Depth=1
	s_or_b64 exec, exec, s[6:7]
	v_mov_b32_e32 v50, 0
	v_mov_b32_e32 v47, 0
	s_and_saveexec_b64 s[6:7], s[4:5]
	s_cbranch_execz .LBB2_34
; %bb.33:                               ;   in Loop: Header=BB2_26 Depth=1
	v_mov_b32_e32 v7, s29
	v_add_co_u32_e32 v6, vcc, s28, v36
	v_addc_co_u32_e32 v7, vcc, v37, v7, vcc
	global_load_ushort v6, v[6:7], off
	s_waitcnt vmcnt(0)
	v_cvt_f32_f16_e32 v47, v6
.LBB2_34:                               ;   in Loop: Header=BB2_26 Depth=1
	s_or_b64 exec, exec, s[6:7]
	v_mov_b32_e32 v7, s37
	v_add_co_u32_e32 v6, vcc, s36, v40
	v_addc_co_u32_e32 v7, vcc, v41, v7, vcc
	v_cmp_gt_u64_e64 s[6:7], s[34:35], v[6:7]
	v_mov_b32_e32 v8, 0
	v_mov_b32_e32 v9, 0
	;; [unrolled: 36-line block ×3, first 2 shown]
	s_and_saveexec_b64 s[10:11], s[8:9]
	s_cbranch_execz .LBB2_40
; %bb.39:                               ;   in Loop: Header=BB2_26 Depth=1
	v_mov_b32_e32 v51, s29
	v_add_co_u32_e32 v6, vcc, s28, v15
	v_addc_co_u32_e32 v7, vcc, v16, v51, vcc
	global_load_ushort v52, v[6:7], off
	v_add_co_u32_e32 v6, vcc, s28, v17
	v_addc_co_u32_e32 v7, vcc, v18, v51, vcc
	global_load_ushort v51, v[6:7], off
	s_waitcnt vmcnt(1)
	v_cvt_f32_f16_e32 v6, v52
	v_cvt_f64_f32_e32 v[6:7], v6
	s_waitcnt vmcnt(0)
	v_cvt_f32_f16_e32 v52, v51
.LBB2_40:                               ;   in Loop: Header=BB2_26 Depth=1
	s_or_b64 exec, exec, s[10:11]
	v_mov_b32_e32 v51, 0
	s_and_saveexec_b64 s[10:11], s[8:9]
	s_cbranch_execz .LBB2_42
; %bb.41:                               ;   in Loop: Header=BB2_26 Depth=1
	v_mov_b32_e32 v51, s29
	v_add_co_u32_e32 v53, vcc, s28, v19
	v_addc_co_u32_e32 v54, vcc, v20, v51, vcc
	global_load_ushort v51, v[53:54], off
	s_waitcnt vmcnt(0)
	v_cvt_f32_f16_e32 v51, v51
.LBB2_42:                               ;   in Loop: Header=BB2_26 Depth=1
	s_or_b64 exec, exec, s[10:11]
	v_cndmask_b32_e64 v53, 0, 1, s[38:39]
	v_cmp_ne_u32_e64 s[10:11], 1, v53
	s_andn2_b64 vcc, exec, s[38:39]
	s_cbranch_vccnz .LBB2_44
; %bb.43:                               ;   in Loop: Header=BB2_26 Depth=1
	global_load_dword v53, v5, s[24:25]
	s_waitcnt vmcnt(0)
	v_div_scale_f32 v54, s[12:13], v53, v53, v46
	v_div_scale_f32 v55, vcc, v46, v53, v46
	v_rcp_f32_e32 v56, v54
	v_fma_f32 v57, -v54, v56, 1.0
	v_fmac_f32_e32 v56, v57, v56
	v_mul_f32_e32 v57, v55, v56
	v_fma_f32 v58, -v54, v57, v55
	v_fmac_f32_e32 v57, v58, v56
	v_fma_f32 v54, -v54, v57, v55
	v_div_fmas_f32 v54, v54, v56, v57
	v_div_fixup_f32 v46, v54, v53, v46
.LBB2_44:                               ;   in Loop: Header=BB2_26 Depth=1
	s_and_b64 vcc, exec, s[10:11]
	s_cbranch_vccnz .LBB2_46
; %bb.45:                               ;   in Loop: Header=BB2_26 Depth=1
	global_load_dword v53, v5, s[24:25]
	s_waitcnt vmcnt(0)
	v_div_scale_f32 v54, s[12:13], v53, v53, v48
	v_div_scale_f32 v55, vcc, v48, v53, v48
	v_rcp_f32_e32 v56, v54
	v_fma_f32 v57, -v54, v56, 1.0
	v_fmac_f32_e32 v56, v57, v56
	v_mul_f32_e32 v57, v55, v56
	v_fma_f32 v58, -v54, v57, v55
	v_fmac_f32_e32 v57, v58, v56
	v_fma_f32 v54, -v54, v57, v55
	v_div_fmas_f32 v54, v54, v56, v57
	v_div_fixup_f32 v48, v54, v53, v48
.LBB2_46:                               ;   in Loop: Header=BB2_26 Depth=1
	s_and_b64 vcc, exec, s[10:11]
	;; [unrolled: 17-line block ×3, first 2 shown]
	s_cbranch_vccnz .LBB2_50
; %bb.49:                               ;   in Loop: Header=BB2_26 Depth=1
	global_load_dword v53, v5, s[24:25]
	s_waitcnt vmcnt(0)
	v_div_scale_f32 v54, s[12:13], v53, v53, v52
	v_div_scale_f32 v55, vcc, v52, v53, v52
	v_rcp_f32_e32 v56, v54
	v_fma_f32 v57, -v54, v56, 1.0
	v_fmac_f32_e32 v56, v57, v56
	v_mul_f32_e32 v57, v55, v56
	v_fma_f32 v58, -v54, v57, v55
	v_fmac_f32_e32 v57, v58, v56
	v_fma_f32 v54, -v54, v57, v55
	v_div_fmas_f32 v54, v54, v56, v57
	v_div_fixup_f32 v52, v54, v53, v52
.LBB2_50:                               ;   in Loop: Header=BB2_26 Depth=1
	v_cndmask_b32_e64 v55, v46, -v46, s[26:27]
	v_cvt_f64_f32_e32 v[53:54], v55
	v_fma_f64 v[53:54], s[22:23], v[12:13], v[53:54]
	v_cvt_f32_f64_e32 v53, v[53:54]
	v_cndmask_b32_e64 v53, v55, v53, s[0:1]
	v_fmac_f32_e32 v45, v53, v53
	s_and_saveexec_b64 s[40:41], s[2:3]
	s_cbranch_execz .LBB2_52
; %bb.51:                               ;   in Loop: Header=BB2_26 Depth=1
	v_mul_f32_e32 v54, 0x4f800000, v45
	v_cmp_gt_f32_e32 vcc, s43, v45
	v_cndmask_b32_e32 v55, v45, v54, vcc
	v_sqrt_f32_e32 v56, v55
	v_cvt_f64_f32_e32 v[53:54], v53
	v_add_u32_e32 v57, -1, v56
	v_fma_f32 v59, -v57, v56, v55
	v_add_u32_e32 v58, 1, v56
	v_cmp_ge_f32_e64 s[12:13], 0, v59
	v_cndmask_b32_e64 v57, v56, v57, s[12:13]
	v_fma_f32 v56, -v58, v56, v55
	v_cmp_lt_f32_e64 s[12:13], 0, v56
	v_cndmask_b32_e64 v56, v57, v58, s[12:13]
	v_mul_f32_e32 v57, 0x37800000, v56
	v_cndmask_b32_e32 v56, v56, v57, vcc
	v_cmp_class_f32_e32 vcc, v55, v42
	v_cndmask_b32_e32 v55, v56, v55, vcc
	v_cvt_f64_f32_e32 v[55:56], v55
	v_mul_f64 v[53:54], v[2:3], v[53:54]
	v_add_f64 v[55:56], s[20:21], v[55:56]
	v_div_scale_f64 v[57:58], s[12:13], v[55:56], v[55:56], v[53:54]
	v_rcp_f64_e32 v[59:60], v[57:58]
	v_fma_f64 v[61:62], -v[57:58], v[59:60], 1.0
	v_fma_f64 v[59:60], v[59:60], v[61:62], v[59:60]
	v_div_scale_f64 v[61:62], vcc, v[53:54], v[55:56], v[53:54]
	v_fma_f64 v[63:64], -v[57:58], v[59:60], 1.0
	v_fma_f64 v[59:60], v[59:60], v[63:64], v[59:60]
	v_mul_f64 v[63:64], v[61:62], v[59:60]
	v_fma_f64 v[57:58], -v[57:58], v[63:64], v[61:62]
	v_div_fmas_f64 v[57:58], v[57:58], v[59:60], v[63:64]
	v_div_fixup_f64 v[53:54], v[57:58], v[55:56], v[53:54]
	v_add_f64 v[12:13], v[12:13], -v[53:54]
	v_mov_b32_e32 v54, s29
	v_add_co_u32_e32 v53, vcc, s28, v1
	v_addc_co_u32_e32 v54, vcc, v14, v54, vcc
	v_and_or_b32 v12, v13, s44, v12
	v_cmp_ne_u32_e64 s[12:13], 0, v12
	v_lshrrev_b32_e32 v55, 8, v13
	v_bfe_u32 v56, v13, 20, 11
	v_cndmask_b32_e64 v57, 0, 1, s[12:13]
	v_sub_u32_e32 v12, 0x3f1, v56
	v_and_or_b32 v55, v55, s45, v57
	v_med3_i32 v12, v12, 0, 13
	v_or_b32_e32 v57, 0x1000, v55
	v_lshrrev_b32_e32 v58, v12, v57
	v_add_u32_e32 v56, 0xfffffc10, v56
	v_cmp_ne_u32_e64 s[18:19], 0, v55
	v_lshlrev_b32_e32 v12, v12, v58
	v_cmp_gt_i32_e64 s[12:13], 1, v56
	v_cmp_gt_i32_e64 s[14:15], 31, v56
	v_cmp_eq_u32_e64 s[16:17], s46, v56
	v_lshl_or_b32 v56, v56, 12, v55
	v_cndmask_b32_e64 v55, v43, v44, s[18:19]
	v_cmp_ne_u32_e64 s[18:19], v12, v57
	v_cndmask_b32_e64 v12, 0, 1, s[18:19]
	v_or_b32_e32 v12, v58, v12
	v_cndmask_b32_e64 v12, v56, v12, s[12:13]
	v_and_b32_e32 v56, 7, v12
	v_cmp_lt_i32_e64 s[12:13], 5, v56
	v_cmp_eq_u32_e64 s[18:19], 3, v56
	v_cndmask_b32_e64 v56, 0, 1, s[12:13]
	v_cndmask_b32_e64 v57, 0, 1, s[18:19]
	v_lshrrev_b32_e32 v12, 2, v12
	v_or_b32_e32 v56, v57, v56
	v_add_u32_e32 v12, v12, v56
	v_cndmask_b32_e64 v12, v43, v12, s[14:15]
	v_lshrrev_b32_e32 v13, 16, v13
	v_cndmask_b32_e64 v12, v12, v55, s[16:17]
	v_and_or_b32 v12, v13, s47, v12
	global_store_short v[53:54], v12, off
.LBB2_52:                               ;   in Loop: Header=BB2_26 Depth=1
	s_or_b64 exec, exec, s[40:41]
	v_cndmask_b32_e64 v53, v48, -v48, s[26:27]
	v_cvt_f64_f32_e32 v[12:13], v53
	v_fma_f64 v[12:13], s[22:23], v[10:11], v[12:13]
	v_cvt_f32_f64_e32 v12, v[12:13]
	v_cndmask_b32_e64 v12, v53, v12, s[0:1]
	v_fmac_f32_e32 v47, v12, v12
	s_and_saveexec_b64 s[14:15], s[4:5]
	s_cbranch_execz .LBB2_54
; %bb.53:                               ;   in Loop: Header=BB2_26 Depth=1
	v_mul_f32_e32 v13, 0x4f800000, v47
	v_cmp_gt_f32_e32 vcc, s43, v47
	v_cndmask_b32_e32 v53, v47, v13, vcc
	v_sqrt_f32_e32 v54, v53
	v_cvt_f64_f32_e32 v[12:13], v12
	v_add_u32_e32 v55, -1, v54
	v_fma_f32 v56, -v55, v54, v53
	v_cmp_ge_f32_e64 s[12:13], 0, v56
	v_add_u32_e32 v56, 1, v54
	v_cndmask_b32_e64 v55, v54, v55, s[12:13]
	v_fma_f32 v54, -v56, v54, v53
	v_cmp_lt_f32_e64 s[12:13], 0, v54
	v_cndmask_b32_e64 v54, v55, v56, s[12:13]
	v_mul_f32_e32 v55, 0x37800000, v54
	v_cndmask_b32_e32 v54, v54, v55, vcc
	v_cmp_class_f32_e32 vcc, v53, v42
	v_cndmask_b32_e32 v53, v54, v53, vcc
	v_cvt_f64_f32_e32 v[53:54], v53
	v_mul_f64 v[12:13], v[2:3], v[12:13]
	v_add_f64 v[53:54], s[20:21], v[53:54]
	v_div_scale_f64 v[55:56], s[12:13], v[53:54], v[53:54], v[12:13]
	v_rcp_f64_e32 v[57:58], v[55:56]
	v_fma_f64 v[59:60], -v[55:56], v[57:58], 1.0
	v_fma_f64 v[57:58], v[57:58], v[59:60], v[57:58]
	v_div_scale_f64 v[59:60], vcc, v[12:13], v[53:54], v[12:13]
	v_fma_f64 v[61:62], -v[55:56], v[57:58], 1.0
	v_fma_f64 v[57:58], v[57:58], v[61:62], v[57:58]
	v_mul_f64 v[61:62], v[59:60], v[57:58]
	v_fma_f64 v[55:56], -v[55:56], v[61:62], v[59:60]
	v_div_fmas_f64 v[55:56], v[55:56], v[57:58], v[61:62]
	v_div_fixup_f64 v[12:13], v[55:56], v[53:54], v[12:13]
	v_add_f64 v[10:11], v[10:11], -v[12:13]
	v_mov_b32_e32 v12, s29
	v_and_or_b32 v10, v11, s44, v10
	v_cmp_ne_u32_e32 vcc, 0, v10
	v_lshrrev_b32_e32 v13, 8, v11
	v_bfe_u32 v53, v11, 20, 11
	v_cndmask_b32_e64 v10, 0, 1, vcc
	v_sub_u32_e32 v54, 0x3f1, v53
	v_and_or_b32 v10, v13, s45, v10
	v_med3_i32 v13, v54, 0, 13
	v_or_b32_e32 v54, 0x1000, v10
	v_lshrrev_b32_e32 v56, v13, v54
	v_add_u32_e32 v53, 0xfffffc10, v53
	v_cmp_ne_u32_e32 vcc, 0, v10
	v_lshlrev_b32_e32 v13, v13, v56
	v_lshl_or_b32 v55, v53, 12, v10
	v_cndmask_b32_e32 v10, v43, v44, vcc
	v_cmp_ne_u32_e32 vcc, v13, v54
	v_cndmask_b32_e64 v13, 0, 1, vcc
	v_or_b32_e32 v13, v56, v13
	v_cmp_gt_i32_e32 vcc, 1, v53
	v_cndmask_b32_e32 v13, v55, v13, vcc
	v_and_b32_e32 v54, 7, v13
	v_cmp_lt_i32_e32 vcc, 5, v54
	v_cndmask_b32_e64 v55, 0, 1, vcc
	v_cmp_eq_u32_e32 vcc, 3, v54
	v_cndmask_b32_e64 v54, 0, 1, vcc
	v_lshrrev_b32_e32 v13, 2, v13
	v_or_b32_e32 v54, v54, v55
	v_add_u32_e32 v13, v13, v54
	v_cmp_gt_i32_e32 vcc, 31, v53
	v_cndmask_b32_e32 v13, v43, v13, vcc
	v_cmp_eq_u32_e32 vcc, s46, v53
	v_lshrrev_b32_e32 v11, 16, v11
	v_cndmask_b32_e32 v10, v13, v10, vcc
	v_and_or_b32 v13, v11, s47, v10
	v_add_co_u32_e32 v10, vcc, s28, v32
	v_addc_co_u32_e32 v11, vcc, v33, v12, vcc
	global_store_short v[10:11], v13, off
.LBB2_54:                               ;   in Loop: Header=BB2_26 Depth=1
	s_or_b64 exec, exec, s[14:15]
	v_cndmask_b32_e64 v12, v50, -v50, s[26:27]
	v_cvt_f64_f32_e32 v[10:11], v12
	v_fma_f64 v[10:11], s[22:23], v[8:9], v[10:11]
	v_cvt_f32_f64_e32 v10, v[10:11]
	v_cndmask_b32_e64 v10, v12, v10, s[0:1]
	v_fmac_f32_e32 v49, v10, v10
	s_and_saveexec_b64 s[14:15], s[6:7]
	s_cbranch_execz .LBB2_56
; %bb.55:                               ;   in Loop: Header=BB2_26 Depth=1
	v_mul_f32_e32 v11, 0x4f800000, v49
	v_cmp_gt_f32_e32 vcc, s43, v49
	v_cndmask_b32_e32 v12, v49, v11, vcc
	v_sqrt_f32_e32 v13, v12
	v_cvt_f64_f32_e32 v[10:11], v10
	v_add_u32_e32 v53, -1, v13
	v_fma_f32 v54, -v53, v13, v12
	v_cmp_ge_f32_e64 s[12:13], 0, v54
	v_add_u32_e32 v54, 1, v13
	v_cndmask_b32_e64 v53, v13, v53, s[12:13]
	v_fma_f32 v13, -v54, v13, v12
	v_cmp_lt_f32_e64 s[12:13], 0, v13
	v_cndmask_b32_e64 v13, v53, v54, s[12:13]
	v_mul_f32_e32 v53, 0x37800000, v13
	v_cndmask_b32_e32 v13, v13, v53, vcc
	v_cmp_class_f32_e32 vcc, v12, v42
	v_cndmask_b32_e32 v12, v13, v12, vcc
	v_cvt_f64_f32_e32 v[12:13], v12
	v_mul_f64 v[10:11], v[2:3], v[10:11]
	v_add_f64 v[12:13], s[20:21], v[12:13]
	v_div_scale_f64 v[53:54], s[12:13], v[12:13], v[12:13], v[10:11]
	v_rcp_f64_e32 v[55:56], v[53:54]
	v_fma_f64 v[57:58], -v[53:54], v[55:56], 1.0
	v_fma_f64 v[55:56], v[55:56], v[57:58], v[55:56]
	v_div_scale_f64 v[57:58], vcc, v[10:11], v[12:13], v[10:11]
	v_fma_f64 v[59:60], -v[53:54], v[55:56], 1.0
	v_fma_f64 v[55:56], v[55:56], v[59:60], v[55:56]
	v_mul_f64 v[59:60], v[57:58], v[55:56]
	v_fma_f64 v[53:54], -v[53:54], v[59:60], v[57:58]
	v_div_fmas_f64 v[53:54], v[53:54], v[55:56], v[59:60]
	v_div_fixup_f64 v[10:11], v[53:54], v[12:13], v[10:11]
	v_add_f64 v[8:9], v[8:9], -v[10:11]
	v_mov_b32_e32 v10, s29
	v_and_or_b32 v8, v9, s44, v8
	v_cmp_ne_u32_e32 vcc, 0, v8
	v_lshrrev_b32_e32 v11, 8, v9
	v_bfe_u32 v12, v9, 20, 11
	v_cndmask_b32_e64 v8, 0, 1, vcc
	v_sub_u32_e32 v13, 0x3f1, v12
	v_and_or_b32 v8, v11, s45, v8
	v_med3_i32 v11, v13, 0, 13
	v_or_b32_e32 v13, 0x1000, v8
	v_lshrrev_b32_e32 v54, v11, v13
	v_add_u32_e32 v12, 0xfffffc10, v12
	v_cmp_ne_u32_e32 vcc, 0, v8
	v_lshlrev_b32_e32 v11, v11, v54
	v_lshl_or_b32 v53, v12, 12, v8
	v_cndmask_b32_e32 v8, v43, v44, vcc
	v_cmp_ne_u32_e32 vcc, v11, v13
	v_cndmask_b32_e64 v11, 0, 1, vcc
	v_or_b32_e32 v11, v54, v11
	v_cmp_gt_i32_e32 vcc, 1, v12
	v_cndmask_b32_e32 v11, v53, v11, vcc
	v_and_b32_e32 v13, 7, v11
	v_cmp_lt_i32_e32 vcc, 5, v13
	v_cndmask_b32_e64 v53, 0, 1, vcc
	v_cmp_eq_u32_e32 vcc, 3, v13
	v_cndmask_b32_e64 v13, 0, 1, vcc
	v_lshrrev_b32_e32 v11, 2, v11
	v_or_b32_e32 v13, v13, v53
	v_add_u32_e32 v11, v11, v13
	v_cmp_gt_i32_e32 vcc, 31, v12
	v_cndmask_b32_e32 v11, v43, v11, vcc
	v_cmp_eq_u32_e32 vcc, s46, v12
	v_lshrrev_b32_e32 v9, 16, v9
	v_cndmask_b32_e32 v8, v11, v8, vcc
	v_and_or_b32 v11, v9, s47, v8
	v_add_co_u32_e32 v8, vcc, s28, v21
	v_addc_co_u32_e32 v9, vcc, v22, v10, vcc
	global_store_short v[8:9], v11, off
.LBB2_56:                               ;   in Loop: Header=BB2_26 Depth=1
	s_or_b64 exec, exec, s[14:15]
	v_cndmask_b32_e64 v10, v52, -v52, s[26:27]
	v_cvt_f64_f32_e32 v[8:9], v10
	v_fma_f64 v[8:9], s[22:23], v[6:7], v[8:9]
	v_cvt_f32_f64_e32 v8, v[8:9]
	v_cndmask_b32_e64 v8, v10, v8, s[0:1]
	v_fmac_f32_e32 v51, v8, v8
	s_and_saveexec_b64 s[14:15], s[8:9]
	s_cbranch_execz .LBB2_58
; %bb.57:                               ;   in Loop: Header=BB2_26 Depth=1
	v_mul_f32_e32 v9, 0x4f800000, v51
	v_cmp_gt_f32_e32 vcc, s43, v51
	v_cndmask_b32_e32 v10, v51, v9, vcc
	v_sqrt_f32_e32 v11, v10
	v_cvt_f64_f32_e32 v[8:9], v8
	v_add_u32_e32 v12, -1, v11
	v_fma_f32 v13, -v12, v11, v10
	v_cmp_ge_f32_e64 s[12:13], 0, v13
	v_add_u32_e32 v13, 1, v11
	v_cndmask_b32_e64 v12, v11, v12, s[12:13]
	v_fma_f32 v11, -v13, v11, v10
	v_cmp_lt_f32_e64 s[12:13], 0, v11
	v_cndmask_b32_e64 v11, v12, v13, s[12:13]
	v_mul_f32_e32 v12, 0x37800000, v11
	v_cndmask_b32_e32 v11, v11, v12, vcc
	v_cmp_class_f32_e32 vcc, v10, v42
	v_cndmask_b32_e32 v10, v11, v10, vcc
	v_cvt_f64_f32_e32 v[10:11], v10
	v_mul_f64 v[8:9], v[2:3], v[8:9]
	v_add_f64 v[10:11], s[20:21], v[10:11]
	v_div_scale_f64 v[12:13], s[12:13], v[10:11], v[10:11], v[8:9]
	v_rcp_f64_e32 v[53:54], v[12:13]
	v_fma_f64 v[55:56], -v[12:13], v[53:54], 1.0
	v_fma_f64 v[53:54], v[53:54], v[55:56], v[53:54]
	v_div_scale_f64 v[55:56], vcc, v[8:9], v[10:11], v[8:9]
	v_fma_f64 v[57:58], -v[12:13], v[53:54], 1.0
	v_fma_f64 v[53:54], v[53:54], v[57:58], v[53:54]
	v_mul_f64 v[57:58], v[55:56], v[53:54]
	v_fma_f64 v[12:13], -v[12:13], v[57:58], v[55:56]
	v_div_fmas_f64 v[12:13], v[12:13], v[53:54], v[57:58]
	v_div_fixup_f64 v[8:9], v[12:13], v[10:11], v[8:9]
	v_add_f64 v[6:7], v[6:7], -v[8:9]
	v_mov_b32_e32 v8, s29
	v_and_or_b32 v6, v7, s44, v6
	v_cmp_ne_u32_e32 vcc, 0, v6
	v_lshrrev_b32_e32 v9, 8, v7
	v_bfe_u32 v10, v7, 20, 11
	v_cndmask_b32_e64 v6, 0, 1, vcc
	v_sub_u32_e32 v11, 0x3f1, v10
	v_and_or_b32 v6, v9, s45, v6
	v_med3_i32 v9, v11, 0, 13
	v_or_b32_e32 v11, 0x1000, v6
	v_lshrrev_b32_e32 v13, v9, v11
	v_add_u32_e32 v10, 0xfffffc10, v10
	v_cmp_ne_u32_e32 vcc, 0, v6
	v_lshlrev_b32_e32 v9, v9, v13
	v_lshl_or_b32 v12, v10, 12, v6
	v_cndmask_b32_e32 v6, v43, v44, vcc
	v_cmp_ne_u32_e32 vcc, v9, v11
	v_cndmask_b32_e64 v9, 0, 1, vcc
	v_or_b32_e32 v9, v13, v9
	v_cmp_gt_i32_e32 vcc, 1, v10
	v_cndmask_b32_e32 v9, v12, v9, vcc
	v_and_b32_e32 v11, 7, v9
	v_cmp_lt_i32_e32 vcc, 5, v11
	v_cndmask_b32_e64 v12, 0, 1, vcc
	v_cmp_eq_u32_e32 vcc, 3, v11
	v_cndmask_b32_e64 v11, 0, 1, vcc
	v_lshrrev_b32_e32 v9, 2, v9
	v_or_b32_e32 v11, v11, v12
	v_add_u32_e32 v9, v9, v11
	v_cmp_gt_i32_e32 vcc, 31, v10
	v_cndmask_b32_e32 v9, v43, v9, vcc
	v_cmp_eq_u32_e32 vcc, s46, v10
	v_lshrrev_b32_e32 v7, 16, v7
	v_cndmask_b32_e32 v6, v9, v6, vcc
	v_and_or_b32 v9, v7, s47, v6
	v_add_co_u32_e32 v6, vcc, s28, v15
	v_addc_co_u32_e32 v7, vcc, v16, v8, vcc
	global_store_short v[6:7], v9, off
.LBB2_58:                               ;   in Loop: Header=BB2_26 Depth=1
	s_or_b64 exec, exec, s[14:15]
	s_and_b64 vcc, exec, s[10:11]
	s_cbranch_vccnz .LBB2_65
; %bb.59:                               ;   in Loop: Header=BB2_26 Depth=1
	s_and_saveexec_b64 s[10:11], s[2:3]
	s_cbranch_execnz .LBB2_73
; %bb.60:                               ;   in Loop: Header=BB2_26 Depth=1
	s_or_b64 exec, exec, s[10:11]
	s_and_saveexec_b64 s[10:11], s[4:5]
	s_cbranch_execnz .LBB2_74
.LBB2_61:                               ;   in Loop: Header=BB2_26 Depth=1
	s_or_b64 exec, exec, s[10:11]
	s_and_saveexec_b64 s[10:11], s[6:7]
	s_cbranch_execnz .LBB2_75
.LBB2_62:                               ;   in Loop: Header=BB2_26 Depth=1
	s_or_b64 exec, exec, s[10:11]
	s_and_saveexec_b64 s[10:11], s[8:9]
	s_cbranch_execz .LBB2_64
.LBB2_63:                               ;   in Loop: Header=BB2_26 Depth=1
	v_cvt_f16_f32_e32 v8, v52
	v_mov_b32_e32 v7, s29
	v_add_co_u32_e32 v6, vcc, s28, v17
	v_addc_co_u32_e32 v7, vcc, v18, v7, vcc
	global_store_short v[6:7], v8, off
.LBB2_64:                               ;   in Loop: Header=BB2_26 Depth=1
	s_or_b64 exec, exec, s[10:11]
.LBB2_65:                               ;   in Loop: Header=BB2_26 Depth=1
	s_and_saveexec_b64 s[10:11], s[2:3]
	s_cbranch_execnz .LBB2_69
; %bb.66:                               ;   in Loop: Header=BB2_26 Depth=1
	s_or_b64 exec, exec, s[10:11]
	s_and_saveexec_b64 s[2:3], s[4:5]
	s_cbranch_execnz .LBB2_70
.LBB2_67:                               ;   in Loop: Header=BB2_26 Depth=1
	s_or_b64 exec, exec, s[2:3]
	s_and_saveexec_b64 s[2:3], s[6:7]
	s_cbranch_execnz .LBB2_71
.LBB2_68:                               ;   in Loop: Header=BB2_26 Depth=1
	s_or_b64 exec, exec, s[2:3]
	s_and_saveexec_b64 s[2:3], s[8:9]
	s_cbranch_execz .LBB2_25
	s_branch .LBB2_72
.LBB2_69:                               ;   in Loop: Header=BB2_26 Depth=1
	v_cvt_f16_f32_e32 v8, v45
	v_mov_b32_e32 v7, s29
	v_add_co_u32_e32 v6, vcc, s28, v4
	v_addc_co_u32_e32 v7, vcc, v29, v7, vcc
	global_store_short v[6:7], v8, off
	s_or_b64 exec, exec, s[10:11]
	s_and_saveexec_b64 s[2:3], s[4:5]
	s_cbranch_execz .LBB2_67
.LBB2_70:                               ;   in Loop: Header=BB2_26 Depth=1
	v_cvt_f16_f32_e32 v8, v47
	v_mov_b32_e32 v7, s29
	v_add_co_u32_e32 v6, vcc, s28, v36
	v_addc_co_u32_e32 v7, vcc, v37, v7, vcc
	global_store_short v[6:7], v8, off
	s_or_b64 exec, exec, s[2:3]
	s_and_saveexec_b64 s[2:3], s[6:7]
	s_cbranch_execz .LBB2_68
.LBB2_71:                               ;   in Loop: Header=BB2_26 Depth=1
	v_cvt_f16_f32_e32 v8, v49
	v_mov_b32_e32 v7, s29
	v_add_co_u32_e32 v6, vcc, s28, v25
	v_addc_co_u32_e32 v7, vcc, v26, v7, vcc
	global_store_short v[6:7], v8, off
	s_or_b64 exec, exec, s[2:3]
	s_and_saveexec_b64 s[2:3], s[8:9]
	s_cbranch_execz .LBB2_25
.LBB2_72:                               ;   in Loop: Header=BB2_26 Depth=1
	v_cvt_f16_f32_e32 v8, v51
	v_mov_b32_e32 v7, s29
	v_add_co_u32_e32 v6, vcc, s28, v19
	v_addc_co_u32_e32 v7, vcc, v20, v7, vcc
	global_store_short v[6:7], v8, off
	s_branch .LBB2_25
.LBB2_73:                               ;   in Loop: Header=BB2_26 Depth=1
	v_cvt_f16_f32_e32 v8, v46
	v_mov_b32_e32 v7, s29
	v_add_co_u32_e32 v6, vcc, s28, v27
	v_addc_co_u32_e32 v7, vcc, v28, v7, vcc
	global_store_short v[6:7], v8, off
	s_or_b64 exec, exec, s[10:11]
	s_and_saveexec_b64 s[10:11], s[4:5]
	s_cbranch_execz .LBB2_61
.LBB2_74:                               ;   in Loop: Header=BB2_26 Depth=1
	v_cvt_f16_f32_e32 v8, v48
	v_mov_b32_e32 v7, s29
	v_add_co_u32_e32 v6, vcc, s28, v34
	v_addc_co_u32_e32 v7, vcc, v35, v7, vcc
	global_store_short v[6:7], v8, off
	s_or_b64 exec, exec, s[10:11]
	s_and_saveexec_b64 s[10:11], s[6:7]
	s_cbranch_execz .LBB2_62
.LBB2_75:                               ;   in Loop: Header=BB2_26 Depth=1
	v_cvt_f16_f32_e32 v8, v50
	v_mov_b32_e32 v7, s29
	v_add_co_u32_e32 v6, vcc, s28, v23
	v_addc_co_u32_e32 v7, vcc, v24, v7, vcc
	global_store_short v[6:7], v8, off
	s_or_b64 exec, exec, s[10:11]
	s_and_saveexec_b64 s[10:11], s[8:9]
	s_cbranch_execnz .LBB2_63
	s_branch .LBB2_64
.LBB2_76:
	s_endpgm
	.section	.rodata,"a",@progbits
	.p2align	6, 0x0
	.amdhsa_kernel _ZN2at6native12_GLOBAL__N_125multi_tensor_apply_kernelINS1_32FusedOptimizerTensorListMetadataILi3EEENS1_23FusedAdagradMathFunctorIN3c104HalfEEEJPKfddddbSA_SA_EEEvT_T0_DpT1_
		.amdhsa_group_segment_fixed_size 0
		.amdhsa_private_segment_fixed_size 0
		.amdhsa_kernarg_size 3856
		.amdhsa_user_sgpr_count 6
		.amdhsa_user_sgpr_private_segment_buffer 1
		.amdhsa_user_sgpr_dispatch_ptr 0
		.amdhsa_user_sgpr_queue_ptr 0
		.amdhsa_user_sgpr_kernarg_segment_ptr 1
		.amdhsa_user_sgpr_dispatch_id 0
		.amdhsa_user_sgpr_flat_scratch_init 0
		.amdhsa_user_sgpr_private_segment_size 0
		.amdhsa_uses_dynamic_stack 0
		.amdhsa_system_sgpr_private_segment_wavefront_offset 0
		.amdhsa_system_sgpr_workgroup_id_x 1
		.amdhsa_system_sgpr_workgroup_id_y 0
		.amdhsa_system_sgpr_workgroup_id_z 0
		.amdhsa_system_sgpr_workgroup_info 0
		.amdhsa_system_vgpr_workitem_id 0
		.amdhsa_next_free_vgpr 67
		.amdhsa_next_free_sgpr 49
		.amdhsa_reserve_vcc 1
		.amdhsa_reserve_flat_scratch 0
		.amdhsa_float_round_mode_32 0
		.amdhsa_float_round_mode_16_64 0
		.amdhsa_float_denorm_mode_32 3
		.amdhsa_float_denorm_mode_16_64 3
		.amdhsa_dx10_clamp 1
		.amdhsa_ieee_mode 1
		.amdhsa_fp16_overflow 0
		.amdhsa_exception_fp_ieee_invalid_op 0
		.amdhsa_exception_fp_denorm_src 0
		.amdhsa_exception_fp_ieee_div_zero 0
		.amdhsa_exception_fp_ieee_overflow 0
		.amdhsa_exception_fp_ieee_underflow 0
		.amdhsa_exception_fp_ieee_inexact 0
		.amdhsa_exception_int_div_zero 0
	.end_amdhsa_kernel
	.section	.text._ZN2at6native12_GLOBAL__N_125multi_tensor_apply_kernelINS1_32FusedOptimizerTensorListMetadataILi3EEENS1_23FusedAdagradMathFunctorIN3c104HalfEEEJPKfddddbSA_SA_EEEvT_T0_DpT1_,"axG",@progbits,_ZN2at6native12_GLOBAL__N_125multi_tensor_apply_kernelINS1_32FusedOptimizerTensorListMetadataILi3EEENS1_23FusedAdagradMathFunctorIN3c104HalfEEEJPKfddddbSA_SA_EEEvT_T0_DpT1_,comdat
.Lfunc_end2:
	.size	_ZN2at6native12_GLOBAL__N_125multi_tensor_apply_kernelINS1_32FusedOptimizerTensorListMetadataILi3EEENS1_23FusedAdagradMathFunctorIN3c104HalfEEEJPKfddddbSA_SA_EEEvT_T0_DpT1_, .Lfunc_end2-_ZN2at6native12_GLOBAL__N_125multi_tensor_apply_kernelINS1_32FusedOptimizerTensorListMetadataILi3EEENS1_23FusedAdagradMathFunctorIN3c104HalfEEEJPKfddddbSA_SA_EEEvT_T0_DpT1_
                                        ; -- End function
	.set _ZN2at6native12_GLOBAL__N_125multi_tensor_apply_kernelINS1_32FusedOptimizerTensorListMetadataILi3EEENS1_23FusedAdagradMathFunctorIN3c104HalfEEEJPKfddddbSA_SA_EEEvT_T0_DpT1_.num_vgpr, 67
	.set _ZN2at6native12_GLOBAL__N_125multi_tensor_apply_kernelINS1_32FusedOptimizerTensorListMetadataILi3EEENS1_23FusedAdagradMathFunctorIN3c104HalfEEEJPKfddddbSA_SA_EEEvT_T0_DpT1_.num_agpr, 0
	.set _ZN2at6native12_GLOBAL__N_125multi_tensor_apply_kernelINS1_32FusedOptimizerTensorListMetadataILi3EEENS1_23FusedAdagradMathFunctorIN3c104HalfEEEJPKfddddbSA_SA_EEEvT_T0_DpT1_.numbered_sgpr, 49
	.set _ZN2at6native12_GLOBAL__N_125multi_tensor_apply_kernelINS1_32FusedOptimizerTensorListMetadataILi3EEENS1_23FusedAdagradMathFunctorIN3c104HalfEEEJPKfddddbSA_SA_EEEvT_T0_DpT1_.num_named_barrier, 0
	.set _ZN2at6native12_GLOBAL__N_125multi_tensor_apply_kernelINS1_32FusedOptimizerTensorListMetadataILi3EEENS1_23FusedAdagradMathFunctorIN3c104HalfEEEJPKfddddbSA_SA_EEEvT_T0_DpT1_.private_seg_size, 0
	.set _ZN2at6native12_GLOBAL__N_125multi_tensor_apply_kernelINS1_32FusedOptimizerTensorListMetadataILi3EEENS1_23FusedAdagradMathFunctorIN3c104HalfEEEJPKfddddbSA_SA_EEEvT_T0_DpT1_.uses_vcc, 1
	.set _ZN2at6native12_GLOBAL__N_125multi_tensor_apply_kernelINS1_32FusedOptimizerTensorListMetadataILi3EEENS1_23FusedAdagradMathFunctorIN3c104HalfEEEJPKfddddbSA_SA_EEEvT_T0_DpT1_.uses_flat_scratch, 0
	.set _ZN2at6native12_GLOBAL__N_125multi_tensor_apply_kernelINS1_32FusedOptimizerTensorListMetadataILi3EEENS1_23FusedAdagradMathFunctorIN3c104HalfEEEJPKfddddbSA_SA_EEEvT_T0_DpT1_.has_dyn_sized_stack, 0
	.set _ZN2at6native12_GLOBAL__N_125multi_tensor_apply_kernelINS1_32FusedOptimizerTensorListMetadataILi3EEENS1_23FusedAdagradMathFunctorIN3c104HalfEEEJPKfddddbSA_SA_EEEvT_T0_DpT1_.has_recursion, 0
	.set _ZN2at6native12_GLOBAL__N_125multi_tensor_apply_kernelINS1_32FusedOptimizerTensorListMetadataILi3EEENS1_23FusedAdagradMathFunctorIN3c104HalfEEEJPKfddddbSA_SA_EEEvT_T0_DpT1_.has_indirect_call, 0
	.section	.AMDGPU.csdata,"",@progbits
; Kernel info:
; codeLenInByte = 6980
; TotalNumSgprs: 53
; NumVgprs: 67
; ScratchSize: 0
; MemoryBound: 0
; FloatMode: 240
; IeeeMode: 1
; LDSByteSize: 0 bytes/workgroup (compile time only)
; SGPRBlocks: 6
; VGPRBlocks: 16
; NumSGPRsForWavesPerEU: 53
; NumVGPRsForWavesPerEU: 67
; Occupancy: 3
; WaveLimiterHint : 0
; COMPUTE_PGM_RSRC2:SCRATCH_EN: 0
; COMPUTE_PGM_RSRC2:USER_SGPR: 6
; COMPUTE_PGM_RSRC2:TRAP_HANDLER: 0
; COMPUTE_PGM_RSRC2:TGID_X_EN: 1
; COMPUTE_PGM_RSRC2:TGID_Y_EN: 0
; COMPUTE_PGM_RSRC2:TGID_Z_EN: 0
; COMPUTE_PGM_RSRC2:TIDIG_COMP_CNT: 0
	.section	.text._ZN2at6native12_GLOBAL__N_125multi_tensor_apply_kernelINS1_32FusedOptimizerTensorListMetadataILi3EEENS1_23FusedAdagradMathFunctorIN3c108BFloat16EEEJPKfddddbSA_SA_EEEvT_T0_DpT1_,"axG",@progbits,_ZN2at6native12_GLOBAL__N_125multi_tensor_apply_kernelINS1_32FusedOptimizerTensorListMetadataILi3EEENS1_23FusedAdagradMathFunctorIN3c108BFloat16EEEJPKfddddbSA_SA_EEEvT_T0_DpT1_,comdat
	.globl	_ZN2at6native12_GLOBAL__N_125multi_tensor_apply_kernelINS1_32FusedOptimizerTensorListMetadataILi3EEENS1_23FusedAdagradMathFunctorIN3c108BFloat16EEEJPKfddddbSA_SA_EEEvT_T0_DpT1_ ; -- Begin function _ZN2at6native12_GLOBAL__N_125multi_tensor_apply_kernelINS1_32FusedOptimizerTensorListMetadataILi3EEENS1_23FusedAdagradMathFunctorIN3c108BFloat16EEEJPKfddddbSA_SA_EEEvT_T0_DpT1_
	.p2align	8
	.type	_ZN2at6native12_GLOBAL__N_125multi_tensor_apply_kernelINS1_32FusedOptimizerTensorListMetadataILi3EEENS1_23FusedAdagradMathFunctorIN3c108BFloat16EEEJPKfddddbSA_SA_EEEvT_T0_DpT1_,@function
_ZN2at6native12_GLOBAL__N_125multi_tensor_apply_kernelINS1_32FusedOptimizerTensorListMetadataILi3EEENS1_23FusedAdagradMathFunctorIN3c108BFloat16EEEJPKfddddbSA_SA_EEEvT_T0_DpT1_: ; @_ZN2at6native12_GLOBAL__N_125multi_tensor_apply_kernelINS1_32FusedOptimizerTensorListMetadataILi3EEENS1_23FusedAdagradMathFunctorIN3c108BFloat16EEEJPKfddddbSA_SA_EEEvT_T0_DpT1_
; %bb.0:
	v_mov_b32_e32 v1, s6
	global_load_ubyte v1, v1, s[4:5] offset:1920
	s_load_dwordx8 s[8:15], s[4:5], 0xdd0
	s_add_u32 s0, s4, s6
	s_mul_hi_u32 s1, s6, 3
	s_mul_i32 s6, s6, 3
	s_addc_u32 s2, s5, 0
	s_add_u32 s0, s0, s6
	s_addc_u32 s1, s2, s1
	s_waitcnt lgkmcnt(0)
	s_cmp_eq_u64 s[8:9], 0
	s_waitcnt vmcnt(0)
	v_readfirstlane_b32 s6, v1
	v_mov_b32_e32 v1, s10
	v_mov_b32_e32 v2, s11
	s_cbranch_scc1 .LBB3_2
; %bb.1:
	s_load_dword s2, s[8:9], 0x0
	s_waitcnt lgkmcnt(0)
	v_cvt_f64_f32_e32 v[1:2], s2
.LBB3_2:
	s_load_dwordx4 s[16:19], s[4:5], 0xe00
	s_waitcnt lgkmcnt(0)
	s_cmp_eq_u64 s[18:19], 0
	s_cselect_b64 s[2:3], -1, 0
	s_and_b64 vcc, exec, s[2:3]
	s_cbranch_vccnz .LBB3_4
; %bb.3:
	s_load_dword s2, s[18:19], 0x0
	s_waitcnt lgkmcnt(0)
	v_cmp_neq_f32_e64 s[2:3], s2, 1.0
.LBB3_4:
	s_andn2_b64 vcc, exec, s[2:3]
	s_cbranch_vccnz .LBB3_90
; %bb.5:
	s_load_dword s2, s[4:5], 0xdf8
	s_waitcnt lgkmcnt(0)
	s_bitcmp1_b32 s2, 0
	s_cselect_b64 s[18:19], -1, 0
	s_and_b32 s2, s6, 0xff
	s_lshl_b32 s6, s2, 3
	s_load_dwordx2 s[2:3], s[4:5], s6 offset:0x600
	s_waitcnt lgkmcnt(0)
	s_load_dword s2, s[2:3], 0x0
	s_waitcnt lgkmcnt(0)
	v_add_f32_e64 v3, s2, -1.0
	v_cvt_f64_f32_e32 v[3:4], v3
	v_fma_f64 v[3:4], s[12:13], v[3:4], 1.0
	v_div_scale_f64 v[5:6], s[2:3], v[3:4], v[3:4], v[1:2]
	s_load_dword s2, s[0:1], 0x8c0
	s_load_dwordx2 s[20:21], s[4:5], 0xdf0
	s_load_dwordx2 s[8:9], s[4:5], s6 offset:0x480
	s_load_dwordx2 s[36:37], s[4:5], s6 offset:0x0
	s_load_dwordx2 s[34:35], s[4:5], s6 offset:0x180
	s_load_dwordx2 s[12:13], s[4:5], s6 offset:0x300
	s_mov_b32 s1, 0
	s_waitcnt lgkmcnt(0)
	s_ashr_i32 s3, s2, 31
	s_lshl_b64 s[10:11], s[2:3], 16
	s_sub_u32 s26, s8, s10
	s_subb_u32 s27, s9, s11
	s_lshl_b64 s[22:23], s[2:3], 17
	s_add_u32 s2, s34, s22
	s_or_b32 s2, s12, s2
	s_and_b32 s0, s36, 7
	s_and_b32 s2, s2, 7
	s_cmp_lg_u32 s2, 0
	v_rcp_f64_e32 v[7:8], v[5:6]
	s_mov_b32 s7, s1
	s_cselect_b64 s[2:3], -1, 0
	s_and_b32 s6, s8, 3
	s_or_b64 s[0:1], s[0:1], s[6:7]
	s_cmp_lg_u64 s[0:1], 0
	s_cselect_b64 s[0:1], -1, 0
	s_or_b64 s[0:1], s[2:3], s[0:1]
	v_fma_f64 v[9:10], -v[5:6], v[7:8], 1.0
	v_fma_f64 v[7:8], v[7:8], v[9:10], v[7:8]
	v_div_scale_f64 v[9:10], vcc, v[1:2], v[3:4], v[1:2]
	v_fma_f64 v[11:12], -v[5:6], v[7:8], 1.0
	v_fma_f64 v[7:8], v[7:8], v[11:12], v[7:8]
	v_mul_f64 v[11:12], v[9:10], v[7:8]
	v_fma_f64 v[5:6], -v[5:6], v[11:12], v[9:10]
	v_div_fmas_f64 v[5:6], v[5:6], v[7:8], v[11:12]
	s_andn2_b64 vcc, exec, s[0:1]
	s_mov_b64 s[0:1], -1
	v_div_fixup_f64 v[2:3], v[5:6], v[3:4], v[1:2]
	s_cbranch_vccz .LBB3_28
; %bb.6:
	v_mov_b32_e32 v4, 0x10000
	v_mov_b32_e32 v5, 0
	v_cmp_lt_i64_e32 vcc, s[26:27], v[4:5]
	v_mov_b32_e32 v5, 0
	s_and_b64 s[0:1], vcc, exec
	s_cselect_b32 s25, s27, 0
	s_cselect_b32 s24, s26, 0x10000
	v_lshlrev_b32_e32 v4, 2, v0
	v_cmp_gt_i64_e32 vcc, s[24:25], v[4:5]
	s_and_saveexec_b64 s[28:29], vcc
	s_cbranch_execz .LBB3_27
; %bb.7:
	v_cmp_neq_f64_e64 s[0:1], s[14:15], 0
	s_load_dword s6, s[4:5], 0xe1c
	s_cmp_lg_u64 s[16:17], 0
	v_lshlrev_b32_e32 v4, 3, v0
	s_cselect_b64 s[2:3], -1, 0
	v_mov_b32_e32 v6, s23
	v_add_co_u32_e32 v4, vcc, s22, v4
	v_mov_b32_e32 v1, v5
	v_addc_co_u32_e32 v32, vcc, 0, v6, vcc
	v_cndmask_b32_e64 v6, 0, 1, s[2:3]
	s_waitcnt lgkmcnt(0)
	s_and_b32 s33, s6, 0xffff
	v_cmp_ne_u32_e64 s[2:3], 1, v6
	v_mov_b32_e32 v7, v1
	s_mov_b64 s[30:31], 0
	s_lshl_b32 s38, s33, 3
	v_mov_b32_e32 v33, s37
	v_mov_b32_e32 v34, s35
	;; [unrolled: 1-line block ×3, first 2 shown]
	s_movk_i32 s39, 0x7fff
	s_mov_b32 s40, 0xf800000
	v_mov_b32_e32 v36, 0x260
	v_mov_b32_e32 v37, 0x7fc0
	;; [unrolled: 1-line block ×4, first 2 shown]
	s_branch .LBB3_9
.LBB3_8:                                ;   in Loop: Header=BB3_9 Depth=1
	v_bfe_u32 v10, v1, 16, 1
	v_add3_u32 v10, v1, v10, s39
	v_cmp_o_f32_e32 vcc, v1, v1
	v_cndmask_b32_sdwa v1, v37, v10, vcc dst_sel:DWORD dst_unused:UNUSED_PAD src0_sel:DWORD src1_sel:WORD_1
	v_bfe_u32 v10, v40, 16, 1
	v_add3_u32 v10, v40, v10, s39
	v_and_b32_e32 v10, 0xffff0000, v10
	v_cmp_o_f32_e32 vcc, v40, v40
	v_cndmask_b32_e32 v10, v38, v10, vcc
	v_or_b32_e32 v1, v10, v1
	v_bfe_u32 v10, v16, 16, 1
	v_add3_u32 v10, v16, v10, s39
	v_bfe_u32 v11, v17, 16, 1
	v_lshrrev_b32_e32 v10, 16, v10
	v_cmp_o_f32_e32 vcc, v16, v16
	v_add3_u32 v11, v17, v11, s39
	v_cndmask_b32_e32 v10, v37, v10, vcc
	v_and_b32_e32 v11, 0xffff0000, v11
	v_cmp_o_f32_e32 vcc, v17, v17
	v_cndmask_b32_e32 v11, v38, v11, vcc
	v_add_co_u32_e32 v6, vcc, s33, v6
	v_addc_co_u32_e32 v7, vcc, 0, v7, vcc
	v_lshlrev_b64 v[12:13], 2, v[6:7]
	v_or3_b32 v11, 0, v10, v11
	v_cmp_le_i64_e32 vcc, s[24:25], v[12:13]
	v_or3_b32 v10, v1, 0, 0
	s_or_b64 s[30:31], vcc, s[30:31]
	v_add_co_u32_e32 v4, vcc, s38, v4
	v_addc_co_u32_e32 v32, vcc, 0, v32, vcc
	global_store_dwordx2 v[8:9], v[10:11], off
	s_andn2_b64 exec, exec, s[30:31]
	s_cbranch_execz .LBB3_27
.LBB3_9:                                ; =>This Inner Loop Header: Depth=1
	v_add_co_u32_e32 v10, vcc, s36, v4
	v_addc_co_u32_e32 v11, vcc, v33, v32, vcc
	v_add_co_u32_e32 v12, vcc, s34, v4
	v_addc_co_u32_e32 v13, vcc, v34, v32, vcc
	v_add_co_u32_e32 v8, vcc, s12, v4
	global_load_dwordx2 v[14:15], v[12:13], off
	v_addc_co_u32_e32 v9, vcc, v35, v32, vcc
	global_load_dwordx2 v[18:19], v[10:11], off
	global_load_dwordx2 v[16:17], v[8:9], off
	s_and_b64 vcc, exec, s[2:3]
	s_waitcnt vmcnt(2)
	v_lshlrev_b32_e32 v1, 16, v14
	s_cbranch_vccnz .LBB3_11
; %bb.10:                               ;   in Loop: Header=BB3_9 Depth=1
	global_load_dword v20, v5, s[16:17]
	s_waitcnt vmcnt(0)
	v_div_scale_f32 v21, s[6:7], v20, v20, v1
	v_div_scale_f32 v22, vcc, v1, v20, v1
	v_rcp_f32_e32 v23, v21
	v_fma_f32 v24, -v21, v23, 1.0
	v_fmac_f32_e32 v23, v24, v23
	v_mul_f32_e32 v24, v22, v23
	v_fma_f32 v25, -v21, v24, v22
	v_fmac_f32_e32 v24, v25, v23
	v_fma_f32 v21, -v21, v24, v22
	v_div_fmas_f32 v21, v21, v23, v24
	v_div_fixup_f32 v1, v21, v20, v1
.LBB3_11:                               ;   in Loop: Header=BB3_9 Depth=1
	s_and_b64 vcc, exec, s[2:3]
	s_cbranch_vccnz .LBB3_13
; %bb.12:                               ;   in Loop: Header=BB3_9 Depth=1
	v_bfe_u32 v20, v1, 16, 1
	v_add3_u32 v20, v1, v20, s39
	v_cmp_o_f32_e32 vcc, v1, v1
	v_cndmask_b32_sdwa v20, v37, v20, vcc dst_sel:DWORD dst_unused:UNUSED_PAD src0_sel:DWORD src1_sel:WORD_1
	v_and_b32_e32 v14, 0xffff0000, v14
	v_or_b32_e32 v14, v20, v14
.LBB3_13:                               ;   in Loop: Header=BB3_9 Depth=1
	s_and_b64 vcc, exec, s[2:3]
	v_and_b32_e32 v22, 0xffff0000, v14
	s_cbranch_vccnz .LBB3_15
; %bb.14:                               ;   in Loop: Header=BB3_9 Depth=1
	global_load_dword v20, v5, s[16:17]
	s_waitcnt vmcnt(0)
	v_div_scale_f32 v21, s[6:7], v20, v20, v22
	v_div_scale_f32 v23, vcc, v22, v20, v22
	v_rcp_f32_e32 v24, v21
	v_fma_f32 v25, -v21, v24, 1.0
	v_fmac_f32_e32 v24, v25, v24
	v_mul_f32_e32 v25, v23, v24
	v_fma_f32 v26, -v21, v25, v23
	v_fmac_f32_e32 v25, v26, v24
	v_fma_f32 v21, -v21, v25, v23
	v_div_fmas_f32 v21, v21, v24, v25
	v_div_fixup_f32 v22, v21, v20, v22
.LBB3_15:                               ;   in Loop: Header=BB3_9 Depth=1
	s_and_b64 vcc, exec, s[2:3]
	s_cbranch_vccnz .LBB3_17
; %bb.16:                               ;   in Loop: Header=BB3_9 Depth=1
	v_bfe_u32 v20, v22, 16, 1
	v_add3_u32 v20, v22, v20, s39
	v_and_b32_e32 v20, 0xffff0000, v20
	v_cmp_o_f32_e32 vcc, v22, v22
	v_cndmask_b32_e32 v20, v38, v20, vcc
	v_or_b32_sdwa v14, v20, v14 dst_sel:DWORD dst_unused:UNUSED_PAD src0_sel:DWORD src1_sel:WORD_0
.LBB3_17:                               ;   in Loop: Header=BB3_9 Depth=1
	v_alignbit_b32 v20, v15, v14, 16
	s_and_b64 vcc, exec, s[2:3]
	v_and_b32_e32 v41, 0xffff0000, v20
	s_cbranch_vccnz .LBB3_19
; %bb.18:                               ;   in Loop: Header=BB3_9 Depth=1
	global_load_dword v20, v5, s[16:17]
	s_waitcnt vmcnt(0)
	v_div_scale_f32 v21, s[6:7], v20, v20, v41
	v_div_scale_f32 v23, vcc, v41, v20, v41
	v_rcp_f32_e32 v24, v21
	v_fma_f32 v25, -v21, v24, 1.0
	v_fmac_f32_e32 v24, v25, v24
	v_mul_f32_e32 v25, v23, v24
	v_fma_f32 v26, -v21, v25, v23
	v_fmac_f32_e32 v25, v26, v24
	v_fma_f32 v21, -v21, v25, v23
	v_div_fmas_f32 v21, v21, v24, v25
	v_div_fixup_f32 v41, v21, v20, v41
.LBB3_19:                               ;   in Loop: Header=BB3_9 Depth=1
	s_and_b64 vcc, exec, s[2:3]
	s_cbranch_vccnz .LBB3_21
; %bb.20:                               ;   in Loop: Header=BB3_9 Depth=1
	v_bfe_u32 v20, v41, 16, 1
	v_add3_u32 v20, v41, v20, s39
	v_cmp_o_f32_e32 vcc, v41, v41
	v_cndmask_b32_sdwa v20, v37, v20, vcc dst_sel:DWORD dst_unused:UNUSED_PAD src0_sel:DWORD src1_sel:WORD_1
	v_and_b32_e32 v15, 0xffff0000, v15
	v_or_b32_e32 v15, v20, v15
.LBB3_21:                               ;   in Loop: Header=BB3_9 Depth=1
	s_and_b64 vcc, exec, s[2:3]
	v_and_b32_e32 v39, 0xffff0000, v15
	s_cbranch_vccnz .LBB3_23
; %bb.22:                               ;   in Loop: Header=BB3_9 Depth=1
	global_load_dword v20, v5, s[16:17]
	s_waitcnt vmcnt(0)
	v_div_scale_f32 v21, s[6:7], v20, v20, v39
	v_div_scale_f32 v23, vcc, v39, v20, v39
	v_rcp_f32_e32 v24, v21
	v_fma_f32 v25, -v21, v24, 1.0
	v_fmac_f32_e32 v24, v25, v24
	v_mul_f32_e32 v25, v23, v24
	v_fma_f32 v26, -v21, v25, v23
	v_fmac_f32_e32 v25, v26, v24
	v_fma_f32 v21, -v21, v25, v23
	v_div_fmas_f32 v21, v21, v24, v25
	v_div_fixup_f32 v39, v21, v20, v39
.LBB3_23:                               ;   in Loop: Header=BB3_9 Depth=1
	s_and_b64 vcc, exec, s[2:3]
	s_cbranch_vccnz .LBB3_25
; %bb.24:                               ;   in Loop: Header=BB3_9 Depth=1
	v_bfe_u32 v20, v39, 16, 1
	v_add3_u32 v20, v39, v20, s39
	v_and_b32_e32 v20, 0xffff0000, v20
	v_cmp_o_f32_e32 vcc, v39, v39
	v_cndmask_b32_e32 v20, v38, v20, vcc
	v_or_b32_sdwa v15, v20, v15 dst_sel:DWORD dst_unused:UNUSED_PAD src0_sel:DWORD src1_sel:WORD_0
.LBB3_25:                               ;   in Loop: Header=BB3_9 Depth=1
	s_waitcnt vmcnt(1)
	v_lshlrev_b32_e32 v20, 16, v18
	v_cndmask_b32_e64 v25, v1, -v1, s[18:19]
	v_cvt_f64_f32_e32 v[20:21], v20
	v_cvt_f64_f32_e32 v[23:24], v25
	s_waitcnt vmcnt(0)
	v_lshlrev_b32_e32 v1, 16, v16
	v_cndmask_b32_e64 v44, v22, -v22, s[18:19]
	v_and_b32_e32 v40, 0xffff0000, v16
	v_fma_f64 v[23:24], s[14:15], v[20:21], v[23:24]
	v_cndmask_b32_e64 v41, v41, -v41, s[18:19]
	v_alignbit_b32 v16, v17, v16, 16
	v_and_b32_e32 v16, 0xffff0000, v16
	v_cndmask_b32_e64 v39, v39, -v39, s[18:19]
	v_and_b32_e32 v17, 0xffff0000, v17
	v_cvt_f32_f64_e32 v23, v[23:24]
	v_cndmask_b32_e64 v23, v25, v23, s[0:1]
	v_fmac_f32_e32 v1, v23, v23
	v_mul_f32_e32 v24, 0x4f800000, v1
	v_cmp_gt_f32_e32 vcc, s40, v1
	v_cndmask_b32_e32 v25, v1, v24, vcc
	v_sqrt_f32_e32 v26, v25
	v_cmp_class_f32_e64 s[6:7], v25, v36
	v_cvt_f64_f32_e32 v[23:24], v23
	v_add_u32_e32 v27, -1, v26
	v_add_u32_e32 v28, 1, v26
	v_fma_f32 v29, -v27, v26, v25
	v_fma_f32 v30, -v28, v26, v25
	v_cmp_ge_f32_e64 s[8:9], 0, v29
	v_cmp_lt_f32_e64 s[10:11], 0, v30
	v_cndmask_b32_e64 v26, v26, v27, s[8:9]
	v_cndmask_b32_e64 v26, v26, v28, s[10:11]
	v_mul_f32_e32 v27, 0x37800000, v26
	v_cndmask_b32_e32 v26, v26, v27, vcc
	v_cndmask_b32_e64 v25, v26, v25, s[6:7]
	v_cvt_f64_f32_e32 v[28:29], v25
	v_mul_f64 v[26:27], v[2:3], v[23:24]
	v_and_b32_e32 v23, 0xffff0000, v18
	v_cvt_f64_f32_e32 v[22:23], v23
	v_add_f64 v[28:29], s[20:21], v[28:29]
	v_cvt_f64_f32_e32 v[24:25], v44
	v_alignbit_b32 v18, v19, v18, 16
	v_and_b32_e32 v18, 0xffff0000, v18
	v_fma_f64 v[24:25], s[14:15], v[22:23], v[24:25]
	v_div_scale_f64 v[42:43], s[6:7], v[28:29], v[28:29], v[26:27]
	v_cvt_f32_f64_e32 v24, v[24:25]
	v_cndmask_b32_e64 v24, v44, v24, s[0:1]
	v_fmac_f32_e32 v40, v24, v24
	v_mul_f32_e32 v44, 0x4f800000, v40
	v_cmp_gt_f32_e32 vcc, s40, v40
	v_cndmask_b32_e32 v46, v40, v44, vcc
	v_sqrt_f32_e32 v47, v46
	v_cmp_class_f32_e64 s[6:7], v46, v36
	v_rcp_f64_e32 v[30:31], v[42:43]
	v_cvt_f64_f32_e32 v[24:25], v24
	v_add_u32_e32 v48, -1, v47
	v_add_u32_e32 v49, 1, v47
	v_fma_f32 v50, -v48, v47, v46
	v_fma_f32 v51, -v49, v47, v46
	v_cmp_ge_f32_e64 s[8:9], 0, v50
	v_cmp_lt_f32_e64 s[10:11], 0, v51
	v_mul_f64 v[24:25], v[2:3], v[24:25]
	v_fma_f64 v[44:45], -v[42:43], v[30:31], 1.0
	v_fma_f64 v[44:45], v[30:31], v[44:45], v[30:31]
	v_cndmask_b32_e64 v30, v47, v48, s[8:9]
	v_cndmask_b32_e64 v30, v30, v49, s[10:11]
	v_mul_f32_e32 v31, 0x37800000, v30
	v_cndmask_b32_e32 v30, v30, v31, vcc
	v_cndmask_b32_e64 v30, v30, v46, s[6:7]
	v_cvt_f64_f32_e32 v[30:31], v30
	v_div_scale_f64 v[48:49], vcc, v[26:27], v[28:29], v[26:27]
	v_fma_f64 v[46:47], -v[42:43], v[44:45], 1.0
	v_add_f64 v[30:31], s[20:21], v[30:31]
	v_fma_f64 v[44:45], v[44:45], v[46:47], v[44:45]
	v_div_scale_f64 v[46:47], s[6:7], v[30:31], v[30:31], v[24:25]
	v_mul_f64 v[50:51], v[48:49], v[44:45]
	v_fma_f64 v[42:43], -v[42:43], v[50:51], v[48:49]
	v_rcp_f64_e32 v[48:49], v[46:47]
	v_div_fmas_f64 v[42:43], v[42:43], v[44:45], v[50:51]
	v_div_scale_f64 v[44:45], vcc, v[24:25], v[30:31], v[24:25]
	v_fma_f64 v[52:53], -v[46:47], v[48:49], 1.0
	v_div_fixup_f64 v[26:27], v[42:43], v[28:29], v[26:27]
	v_fma_f64 v[48:49], v[48:49], v[52:53], v[48:49]
	v_cvt_f64_f32_e32 v[28:29], v39
	v_add_f64 v[20:21], v[20:21], -v[26:27]
	v_fma_f64 v[50:51], -v[46:47], v[48:49], 1.0
	v_cvt_f32_f64_e32 v26, v[20:21]
	v_fma_f64 v[48:49], v[48:49], v[50:51], v[48:49]
	v_mul_f64 v[50:51], v[44:45], v[48:49]
	v_fma_f64 v[44:45], -v[46:47], v[50:51], v[44:45]
	v_cvt_f64_f32_e32 v[46:47], v41
	v_div_fmas_f64 v[44:45], v[44:45], v[48:49], v[50:51]
	v_cvt_f64_f32_e32 v[48:49], v18
	v_fma_f64 v[46:47], s[14:15], v[48:49], v[46:47]
	v_cvt_f32_f64_e32 v18, v[46:47]
	v_div_fixup_f64 v[24:25], v[44:45], v[30:31], v[24:25]
	v_cndmask_b32_e64 v18, v41, v18, s[0:1]
	v_fmac_f32_e32 v16, v18, v18
	v_mul_f32_e32 v41, 0x4f800000, v16
	v_cmp_gt_f32_e32 vcc, s40, v16
	v_cndmask_b32_e32 v41, v16, v41, vcc
	v_sqrt_f32_e32 v46, v41
	v_add_f64 v[20:21], v[22:23], -v[24:25]
	v_bfe_u32 v24, v26, 16, 1
	v_add_u32_e32 v47, -1, v46
	v_fma_f32 v50, -v47, v46, v41
	v_cmp_ge_f32_e64 s[6:7], 0, v50
	v_add_u32_e32 v50, 1, v46
	v_fma_f32 v51, -v50, v46, v41
	v_cmp_lt_f32_e64 s[8:9], 0, v51
	v_cndmask_b32_e64 v46, v46, v47, s[6:7]
	v_cndmask_b32_e64 v46, v46, v50, s[8:9]
	v_mul_f32_e32 v47, 0x37800000, v46
	v_cndmask_b32_e32 v50, v46, v47, vcc
	v_cmp_class_f32_e32 vcc, v41, v36
	v_cvt_f64_f32_e32 v[46:47], v18
	v_cndmask_b32_e32 v18, v50, v41, vcc
	v_cvt_f64_f32_e32 v[50:51], v18
	v_and_b32_e32 v18, 0xffff0000, v19
	v_mul_f64 v[46:47], v[2:3], v[46:47]
	v_cvt_f64_f32_e32 v[18:19], v18
	v_add_f64 v[50:51], s[20:21], v[50:51]
	v_add3_u32 v27, v26, v24, s39
	v_fma_f64 v[28:29], s[14:15], v[18:19], v[28:29]
	v_div_scale_f64 v[52:53], s[6:7], v[50:51], v[50:51], v[46:47]
	v_cvt_f32_f64_e32 v28, v[28:29]
	v_cndmask_b32_e64 v28, v39, v28, s[0:1]
	v_fmac_f32_e32 v17, v28, v28
	v_mul_f32_e32 v29, 0x4f800000, v17
	v_rcp_f64_e32 v[54:55], v[52:53]
	v_fma_f64 v[56:57], -v[52:53], v[54:55], 1.0
	v_fma_f64 v[54:55], v[54:55], v[56:57], v[54:55]
	v_fma_f64 v[56:57], -v[52:53], v[54:55], 1.0
	v_fma_f64 v[54:55], v[54:55], v[56:57], v[54:55]
	v_div_scale_f64 v[56:57], vcc, v[46:47], v[50:51], v[46:47]
	v_mul_f64 v[58:59], v[56:57], v[54:55]
	v_fma_f64 v[52:53], -v[52:53], v[58:59], v[56:57]
	s_nop 1
	v_div_fmas_f64 v[52:53], v[52:53], v[54:55], v[58:59]
	v_cmp_gt_f32_e32 vcc, s40, v17
	v_cndmask_b32_e32 v39, v17, v29, vcc
	v_sqrt_f32_e32 v29, v39
	v_add_u32_e32 v41, -1, v29
	v_fma_f32 v42, -v41, v29, v39
	v_cmp_ge_f32_e64 s[6:7], 0, v42
	v_add_u32_e32 v42, 1, v29
	v_cndmask_b32_e64 v41, v29, v41, s[6:7]
	v_fma_f32 v29, -v42, v29, v39
	v_cmp_lt_f32_e64 s[6:7], 0, v29
	v_cndmask_b32_e64 v29, v41, v42, s[6:7]
	v_mul_f32_e32 v41, 0x37800000, v29
	v_cndmask_b32_e32 v41, v29, v41, vcc
	v_cmp_class_f32_e32 vcc, v39, v36
	v_cndmask_b32_e32 v39, v41, v39, vcc
	v_cvt_f64_f32_e32 v[28:29], v28
	v_cvt_f64_f32_e32 v[41:42], v39
	v_div_fixup_f64 v[22:23], v[52:53], v[50:51], v[46:47]
	v_mul_f64 v[28:29], v[2:3], v[28:29]
	v_add_f64 v[41:42], s[20:21], v[41:42]
	v_div_scale_f64 v[54:55], s[6:7], v[41:42], v[41:42], v[28:29]
	v_rcp_f64_e32 v[56:57], v[54:55]
	v_fma_f64 v[58:59], -v[54:55], v[56:57], 1.0
	v_fma_f64 v[56:57], v[56:57], v[58:59], v[56:57]
	v_fma_f64 v[58:59], -v[54:55], v[56:57], 1.0
	v_fma_f64 v[56:57], v[56:57], v[58:59], v[56:57]
	v_div_scale_f64 v[58:59], vcc, v[28:29], v[41:42], v[28:29]
	v_mul_f64 v[60:61], v[58:59], v[56:57]
	v_fma_f64 v[54:55], -v[54:55], v[60:61], v[58:59]
	s_nop 1
	v_div_fmas_f64 v[54:55], v[54:55], v[56:57], v[60:61]
	v_cmp_o_f32_e32 vcc, v26, v26
	v_div_fixup_f64 v[24:25], v[54:55], v[41:42], v[28:29]
	v_cvt_f32_f64_e32 v28, v[20:21]
	v_add_f64 v[20:21], v[48:49], -v[22:23]
	v_lshrrev_b32_e32 v22, 16, v27
	v_cndmask_b32_e32 v22, v37, v22, vcc
	v_bfe_u32 v23, v28, 16, 1
	v_add3_u32 v23, v28, v23, s39
	v_and_b32_e32 v23, 0xffff0000, v23
	v_add_f64 v[18:19], v[18:19], -v[24:25]
	v_cmp_o_f32_e32 vcc, v28, v28
	v_cvt_f32_f64_e32 v20, v[20:21]
	v_cndmask_b32_e32 v21, v38, v23, vcc
	v_or_b32_e32 v21, v21, v22
	v_bfe_u32 v22, v20, 16, 1
	v_add3_u32 v22, v20, v22, s39
	v_cvt_f32_f64_e32 v18, v[18:19]
	v_cmp_o_f32_e32 vcc, v20, v20
	v_lshrrev_b32_e32 v19, 16, v22
	v_cndmask_b32_e32 v19, v37, v19, vcc
	v_bfe_u32 v20, v18, 16, 1
	v_add3_u32 v20, v18, v20, s39
	v_and_b32_e32 v20, 0xffff0000, v20
	v_cmp_o_f32_e32 vcc, v18, v18
	v_cndmask_b32_e32 v18, v38, v20, vcc
	v_or3_b32 v19, 0, v19, v18
	v_or3_b32 v18, v21, 0, 0
	s_and_b64 vcc, exec, s[2:3]
	global_store_dwordx2 v[10:11], v[18:19], off
	s_cbranch_vccnz .LBB3_8
; %bb.26:                               ;   in Loop: Header=BB3_9 Depth=1
	global_store_dwordx2 v[12:13], v[14:15], off
	s_branch .LBB3_8
.LBB3_27:
	s_or_b64 exec, exec, s[28:29]
	s_mov_b64 s[0:1], 0
.LBB3_28:
	s_andn2_b64 vcc, exec, s[0:1]
	s_cbranch_vccnz .LBB3_90
; %bb.29:
	v_cmp_lt_i64_e64 s[0:1], s[26:27], 1
	s_and_b64 vcc, exec, s[0:1]
	s_cbranch_vccnz .LBB3_90
; %bb.30:
	v_mov_b32_e32 v6, 0x10000
	s_load_dword s2, s[4:5], 0xe1c
	v_mov_b32_e32 v7, 0
	v_cmp_lt_i64_e32 vcc, s[26:27], v[6:7]
	v_lshlrev_b32_e32 v4, 1, v0
	s_and_b64 s[0:1], vcc, exec
	v_cmp_lt_u64_e32 vcc, s[26:27], v[6:7]
	s_cselect_b32 s25, s27, 0
	s_cselect_b32 s24, s26, 0x10000
	s_waitcnt lgkmcnt(0)
	s_and_b32 s4, s2, 0xffff
	v_mov_b32_e32 v5, 0
	s_and_b64 s[0:1], vcc, exec
	v_mov_b32_e32 v6, s37
	v_add_co_u32_e32 v1, vcc, s36, v4
	v_addc_co_u32_e32 v14, vcc, 0, v6, vcc
	v_mad_u64_u32 v[6:7], s[2:3], s4, 6, v[4:5]
	v_mov_b32_e32 v9, s37
	s_cselect_b32 s27, s27, 0
	v_add_co_u32_e32 v15, vcc, s36, v6
	v_addc_co_u32_e32 v16, vcc, v9, v7, vcc
	v_mov_b32_e32 v9, s35
	v_add_co_u32_e32 v17, vcc, s34, v6
	s_cselect_b32 s26, s26, 0x10000
	s_lshl_b32 s5, s4, 1
	v_addc_co_u32_e32 v18, vcc, v9, v7, vcc
	s_cmp_lg_u64 s[16:17], 0
	v_mov_b32_e32 v9, s13
	v_add_co_u32_e32 v19, vcc, s12, v6
	s_cselect_b64 s[30:31], -1, 0
	s_lshl_b32 s38, s4, 2
	v_addc_co_u32_e32 v20, vcc, v9, v7, vcc
	v_add_co_u32_e32 v6, vcc, s38, v4
	v_addc_co_u32_e64 v7, s[2:3], 0, 0, vcc
	v_mov_b32_e32 v9, s37
	v_add_co_u32_e32 v21, vcc, s36, v6
	v_addc_co_u32_e32 v22, vcc, v9, v7, vcc
	v_mov_b32_e32 v9, s35
	v_add_co_u32_e32 v23, vcc, s34, v6
	v_addc_co_u32_e32 v24, vcc, v9, v7, vcc
	;; [unrolled: 3-line block ×5, first 2 shown]
	v_add_co_u32_e32 v30, vcc, s4, v0
	v_lshlrev_b32_e32 v6, 1, v30
	v_addc_co_u32_e64 v31, s[2:3], 0, 0, vcc
	v_mov_b32_e32 v7, s37
	v_add_co_u32_e32 v32, vcc, s36, v6
	v_cmp_neq_f64_e64 s[0:1], s[14:15], 0
	v_addc_co_u32_e32 v33, vcc, 0, v7, vcc
	v_mov_b32_e32 v7, s35
	v_add_co_u32_e32 v34, vcc, s34, v6
	v_addc_co_u32_e32 v35, vcc, 0, v7, vcc
	v_mov_b32_e32 v7, s13
	v_add_co_u32_e32 v36, vcc, s12, v6
	s_mul_i32 s6, s4, 3
	v_addc_co_u32_e32 v37, vcc, 0, v7, vcc
	v_add_co_u32_e32 v38, vcc, s6, v0
	v_addc_co_u32_e64 v39, s[2:3], 0, 0, vcc
	v_add_co_u32_e32 v40, vcc, s5, v0
	s_mov_b32 s33, 0
	s_mov_b64 s[28:29], 0
	s_lshl_b32 s39, s4, 3
	s_movk_i32 s36, 0x7fff
	s_mov_b32 s37, 0xf800000
	v_addc_co_u32_e64 v41, s[2:3], 0, 0, vcc
	v_mov_b32_e32 v42, 0x260
	v_mov_b32_e32 v43, 0x7fc0
	;; [unrolled: 1-line block ×3, first 2 shown]
	s_branch .LBB3_32
.LBB3_31:                               ;   in Loop: Header=BB3_32 Depth=1
	s_or_b64 exec, exec, s[2:3]
	v_add_co_u32_e32 v1, vcc, s39, v1
	v_addc_co_u32_e32 v14, vcc, 0, v14, vcc
	v_add_co_u32_e32 v27, vcc, s39, v27
	v_addc_co_u32_e32 v28, vcc, 0, v28, vcc
	;; [unrolled: 2-line block ×10, first 2 shown]
	s_add_u32 s28, s28, s38
	v_add_co_u32_e32 v34, vcc, s39, v34
	v_mov_b32_e32 v6, s24
	s_addc_u32 s29, s29, 0
	v_addc_co_u32_e32 v35, vcc, 0, v35, vcc
	v_mov_b32_e32 v7, s25
	v_cmp_ge_i64_e32 vcc, s[28:29], v[6:7]
	v_add_co_u32_e64 v36, s[2:3], s39, v36
	v_addc_co_u32_e64 v37, s[2:3], 0, v37, s[2:3]
	s_cbranch_vccnz .LBB3_90
.LBB3_32:                               ; =>This Inner Loop Header: Depth=1
	v_mov_b32_e32 v7, s29
	v_add_co_u32_e32 v6, vcc, s28, v0
	v_addc_co_u32_e32 v7, vcc, 0, v7, vcc
	v_cmp_gt_u64_e64 s[2:3], s[26:27], v[6:7]
	v_mov_b32_e32 v8, 0
	v_mov_b32_e32 v6, 0
	;; [unrolled: 1-line block ×6, first 2 shown]
	s_and_saveexec_b64 s[4:5], s[2:3]
	s_cbranch_execz .LBB3_34
; %bb.33:                               ;   in Loop: Header=BB3_32 Depth=1
	v_mov_b32_e32 v11, s23
	v_add_co_u32_e32 v6, vcc, s22, v27
	v_addc_co_u32_e32 v7, vcc, v28, v11, vcc
	v_add_co_u32_e32 v10, vcc, s22, v1
	v_addc_co_u32_e32 v11, vcc, v14, v11, vcc
	global_load_ushort v12, v[10:11], off
	global_load_ushort v13, v[6:7], off
	v_mov_b32_e32 v11, s33
	v_mov_b32_e32 v7, s33
	s_waitcnt vmcnt(1)
	v_and_b32_e32 v10, 0xffff, v12
	s_waitcnt vmcnt(0)
	v_and_b32_e32 v6, 0xffff, v13
.LBB3_34:                               ;   in Loop: Header=BB3_32 Depth=1
	s_or_b64 exec, exec, s[4:5]
	s_and_saveexec_b64 s[4:5], s[2:3]
	s_cbranch_execz .LBB3_36
; %bb.35:                               ;   in Loop: Header=BB3_32 Depth=1
	v_mov_b32_e32 v9, s23
	v_add_co_u32_e32 v8, vcc, s22, v4
	v_addc_co_u32_e32 v9, vcc, v29, v9, vcc
	global_load_ushort v8, v[8:9], off
	v_mov_b32_e32 v9, s33
	s_waitcnt vmcnt(0)
	v_and_b32_e32 v8, 0xffff, v8
.LBB3_36:                               ;   in Loop: Header=BB3_32 Depth=1
	s_or_b64 exec, exec, s[4:5]
	v_mov_b32_e32 v13, s29
	v_add_co_u32_e32 v12, vcc, s28, v30
	v_addc_co_u32_e32 v13, vcc, v31, v13, vcc
	v_cmp_gt_u64_e64 s[4:5], s[26:27], v[12:13]
	s_and_saveexec_b64 s[6:7], s[4:5]
	s_cbranch_execz .LBB3_38
; %bb.37:                               ;   in Loop: Header=BB3_32 Depth=1
	v_mov_b32_e32 v45, s23
	v_add_co_u32_e32 v12, vcc, s22, v32
	v_addc_co_u32_e32 v13, vcc, v33, v45, vcc
	global_load_ushort v46, v[12:13], off
	v_add_co_u32_e32 v12, vcc, s22, v34
	v_addc_co_u32_e32 v13, vcc, v35, v45, vcc
	global_load_ushort v12, v[12:13], off
	s_waitcnt vmcnt(1)
	v_lshl_or_b32 v10, v46, 16, v10
	s_waitcnt vmcnt(0)
	v_lshl_or_b32 v6, v12, 16, v6
.LBB3_38:                               ;   in Loop: Header=BB3_32 Depth=1
	s_or_b64 exec, exec, s[6:7]
	s_and_saveexec_b64 s[6:7], s[4:5]
	s_cbranch_execz .LBB3_40
; %bb.39:                               ;   in Loop: Header=BB3_32 Depth=1
	v_mov_b32_e32 v13, s23
	v_add_co_u32_e32 v12, vcc, s22, v36
	v_addc_co_u32_e32 v13, vcc, v37, v13, vcc
	global_load_ushort v12, v[12:13], off
	s_waitcnt vmcnt(0)
	v_lshl_or_b32 v8, v12, 16, v8
.LBB3_40:                               ;   in Loop: Header=BB3_32 Depth=1
	s_or_b64 exec, exec, s[6:7]
	v_mov_b32_e32 v13, s29
	v_add_co_u32_e32 v12, vcc, s28, v40
	v_addc_co_u32_e32 v13, vcc, v41, v13, vcc
	v_cmp_gt_u64_e64 s[6:7], s[26:27], v[12:13]
	v_cmp_le_u64_e32 vcc, s[26:27], v[12:13]
	s_and_saveexec_b64 s[8:9], vcc
	s_xor_b64 s[8:9], exec, s[8:9]
	s_andn2_saveexec_b64 s[8:9], s[8:9]
	s_cbranch_execz .LBB3_42
; %bb.41:                               ;   in Loop: Header=BB3_32 Depth=1
	v_mov_b32_e32 v45, s23
	v_add_co_u32_e32 v12, vcc, s22, v21
	v_addc_co_u32_e32 v13, vcc, v22, v45, vcc
	global_load_ushort v46, v[12:13], off
	v_add_co_u32_e32 v12, vcc, s22, v23
	v_addc_co_u32_e32 v13, vcc, v24, v45, vcc
	global_load_ushort v12, v[12:13], off
	s_waitcnt vmcnt(1)
	v_or_b32_e32 v11, v46, v11
	s_waitcnt vmcnt(0)
	v_or_b32_e32 v7, v12, v7
.LBB3_42:                               ;   in Loop: Header=BB3_32 Depth=1
	s_or_b64 exec, exec, s[8:9]
	s_and_saveexec_b64 s[8:9], s[6:7]
	s_cbranch_execz .LBB3_44
; %bb.43:                               ;   in Loop: Header=BB3_32 Depth=1
	v_mov_b32_e32 v13, s23
	v_add_co_u32_e32 v12, vcc, s22, v25
	v_addc_co_u32_e32 v13, vcc, v26, v13, vcc
	global_load_ushort v12, v[12:13], off
	s_waitcnt vmcnt(0)
	v_or_b32_e32 v9, v12, v9
.LBB3_44:                               ;   in Loop: Header=BB3_32 Depth=1
	s_or_b64 exec, exec, s[8:9]
	v_mov_b32_e32 v13, s29
	v_add_co_u32_e32 v12, vcc, s28, v38
	v_addc_co_u32_e32 v13, vcc, v39, v13, vcc
	v_cmp_gt_u64_e64 s[8:9], s[26:27], v[12:13]
	s_and_saveexec_b64 s[10:11], s[8:9]
	s_cbranch_execz .LBB3_46
; %bb.45:                               ;   in Loop: Header=BB3_32 Depth=1
	v_mov_b32_e32 v45, s23
	v_add_co_u32_e32 v12, vcc, s22, v15
	v_addc_co_u32_e32 v13, vcc, v16, v45, vcc
	global_load_ushort v46, v[12:13], off
	v_add_co_u32_e32 v12, vcc, s22, v17
	v_addc_co_u32_e32 v13, vcc, v18, v45, vcc
	global_load_ushort v12, v[12:13], off
	v_add_co_u32_e32 v6, vcc, 0, v6
	s_waitcnt vmcnt(1)
	v_lshlrev_b32_e32 v13, 16, v46
	v_or_b32_e32 v11, v13, v11
	s_waitcnt vmcnt(0)
	v_lshlrev_b32_e32 v12, 16, v12
	v_addc_co_u32_e32 v7, vcc, v12, v7, vcc
.LBB3_46:                               ;   in Loop: Header=BB3_32 Depth=1
	s_or_b64 exec, exec, s[10:11]
	s_and_saveexec_b64 s[10:11], s[8:9]
	s_cbranch_execz .LBB3_48
; %bb.47:                               ;   in Loop: Header=BB3_32 Depth=1
	v_mov_b32_e32 v13, s23
	v_add_co_u32_e32 v12, vcc, s22, v19
	v_addc_co_u32_e32 v13, vcc, v20, v13, vcc
	global_load_ushort v12, v[12:13], off
	s_waitcnt vmcnt(0)
	v_lshlrev_b32_e32 v12, 16, v12
	v_or_b32_e32 v9, v12, v9
.LBB3_48:                               ;   in Loop: Header=BB3_32 Depth=1
	s_or_b64 exec, exec, s[10:11]
	v_cndmask_b32_e64 v12, 0, 1, s[30:31]
	v_cmp_ne_u32_e64 s[10:11], 1, v12
	s_andn2_b64 vcc, exec, s[30:31]
	v_lshlrev_b32_e32 v12, 16, v6
	s_cbranch_vccnz .LBB3_50
; %bb.49:                               ;   in Loop: Header=BB3_32 Depth=1
	global_load_dword v13, v5, s[16:17]
	s_waitcnt vmcnt(0)
	v_div_scale_f32 v45, s[12:13], v13, v13, v12
	v_div_scale_f32 v46, vcc, v12, v13, v12
	v_rcp_f32_e32 v47, v45
	v_fma_f32 v48, -v45, v47, 1.0
	v_fmac_f32_e32 v47, v48, v47
	v_mul_f32_e32 v48, v46, v47
	v_fma_f32 v49, -v45, v48, v46
	v_fmac_f32_e32 v48, v49, v47
	v_fma_f32 v45, -v45, v48, v46
	v_div_fmas_f32 v45, v45, v47, v48
	v_div_fixup_f32 v12, v45, v13, v12
.LBB3_50:                               ;   in Loop: Header=BB3_32 Depth=1
	s_and_b64 vcc, exec, s[10:11]
	s_cbranch_vccnz .LBB3_52
; %bb.51:                               ;   in Loop: Header=BB3_32 Depth=1
	v_bfe_u32 v13, v12, 16, 1
	v_add3_u32 v13, v12, v13, s36
	v_cmp_o_f32_e32 vcc, v12, v12
	v_cndmask_b32_sdwa v13, v43, v13, vcc dst_sel:DWORD dst_unused:UNUSED_PAD src0_sel:DWORD src1_sel:WORD_1
	v_and_b32_e32 v6, 0xffff0000, v6
	v_or_b32_e32 v6, v13, v6
.LBB3_52:                               ;   in Loop: Header=BB3_32 Depth=1
	s_and_b64 vcc, exec, s[10:11]
	v_and_b32_e32 v46, 0xffff0000, v6
	s_cbranch_vccnz .LBB3_54
; %bb.53:                               ;   in Loop: Header=BB3_32 Depth=1
	global_load_dword v13, v5, s[16:17]
	s_waitcnt vmcnt(0)
	v_div_scale_f32 v45, s[12:13], v13, v13, v46
	v_div_scale_f32 v47, vcc, v46, v13, v46
	v_rcp_f32_e32 v48, v45
	v_fma_f32 v49, -v45, v48, 1.0
	v_fmac_f32_e32 v48, v49, v48
	v_mul_f32_e32 v49, v47, v48
	v_fma_f32 v50, -v45, v49, v47
	v_fmac_f32_e32 v49, v50, v48
	v_fma_f32 v45, -v45, v49, v47
	v_div_fmas_f32 v45, v45, v48, v49
	v_div_fixup_f32 v46, v45, v13, v46
.LBB3_54:                               ;   in Loop: Header=BB3_32 Depth=1
	s_and_b64 vcc, exec, s[10:11]
	s_cbranch_vccnz .LBB3_56
; %bb.55:                               ;   in Loop: Header=BB3_32 Depth=1
	v_bfe_u32 v13, v46, 16, 1
	v_add3_u32 v13, v46, v13, s36
	v_and_b32_e32 v13, 0xffff0000, v13
	v_cmp_o_f32_e32 vcc, v46, v46
	v_cndmask_b32_e32 v13, v44, v13, vcc
	v_or_b32_sdwa v6, v13, v6 dst_sel:DWORD dst_unused:UNUSED_PAD src0_sel:DWORD src1_sel:WORD_0
.LBB3_56:                               ;   in Loop: Header=BB3_32 Depth=1
	v_alignbit_b32 v13, v7, v6, 16
	s_and_b64 vcc, exec, s[10:11]
	v_and_b32_e32 v48, 0xffff0000, v13
	s_cbranch_vccnz .LBB3_58
; %bb.57:                               ;   in Loop: Header=BB3_32 Depth=1
	global_load_dword v13, v5, s[16:17]
	s_waitcnt vmcnt(0)
	v_div_scale_f32 v45, s[12:13], v13, v13, v48
	v_div_scale_f32 v47, vcc, v48, v13, v48
	v_rcp_f32_e32 v49, v45
	v_fma_f32 v50, -v45, v49, 1.0
	v_fmac_f32_e32 v49, v50, v49
	v_mul_f32_e32 v50, v47, v49
	v_fma_f32 v51, -v45, v50, v47
	v_fmac_f32_e32 v50, v51, v49
	v_fma_f32 v45, -v45, v50, v47
	v_div_fmas_f32 v45, v45, v49, v50
	v_div_fixup_f32 v48, v45, v13, v48
.LBB3_58:                               ;   in Loop: Header=BB3_32 Depth=1
	s_and_b64 vcc, exec, s[10:11]
	s_cbranch_vccnz .LBB3_60
; %bb.59:                               ;   in Loop: Header=BB3_32 Depth=1
	v_bfe_u32 v13, v48, 16, 1
	v_add3_u32 v13, v48, v13, s36
	v_cmp_o_f32_e32 vcc, v48, v48
	v_cndmask_b32_sdwa v13, v43, v13, vcc dst_sel:DWORD dst_unused:UNUSED_PAD src0_sel:DWORD src1_sel:WORD_1
	v_and_b32_e32 v7, 0xffff0000, v7
	v_or_b32_e32 v7, v13, v7
.LBB3_60:                               ;   in Loop: Header=BB3_32 Depth=1
	s_and_b64 vcc, exec, s[10:11]
	v_and_b32_e32 v47, 0xffff0000, v7
	s_cbranch_vccnz .LBB3_62
; %bb.61:                               ;   in Loop: Header=BB3_32 Depth=1
	global_load_dword v13, v5, s[16:17]
	s_waitcnt vmcnt(0)
	v_div_scale_f32 v45, s[12:13], v13, v13, v47
	v_div_scale_f32 v49, vcc, v47, v13, v47
	v_rcp_f32_e32 v50, v45
	v_fma_f32 v51, -v45, v50, 1.0
	v_fmac_f32_e32 v50, v51, v50
	v_mul_f32_e32 v51, v49, v50
	v_fma_f32 v52, -v45, v51, v49
	v_fmac_f32_e32 v51, v52, v50
	v_fma_f32 v45, -v45, v51, v49
	v_div_fmas_f32 v45, v45, v50, v51
	v_div_fixup_f32 v47, v45, v13, v47
.LBB3_62:                               ;   in Loop: Header=BB3_32 Depth=1
	s_and_b64 vcc, exec, s[10:11]
	s_cbranch_vccnz .LBB3_64
; %bb.63:                               ;   in Loop: Header=BB3_32 Depth=1
	v_bfe_u32 v13, v47, 16, 1
	v_add3_u32 v13, v47, v13, s36
	v_and_b32_e32 v13, 0xffff0000, v13
	v_cmp_o_f32_e32 vcc, v47, v47
	v_cndmask_b32_e32 v13, v44, v13, vcc
	v_or_b32_sdwa v7, v13, v7 dst_sel:DWORD dst_unused:UNUSED_PAD src0_sel:DWORD src1_sel:WORD_0
.LBB3_64:                               ;   in Loop: Header=BB3_32 Depth=1
	v_lshlrev_b32_e32 v13, 16, v10
	v_cndmask_b32_e64 v51, v12, -v12, s[18:19]
	v_cvt_f64_f32_e32 v[12:13], v13
	v_cvt_f64_f32_e32 v[49:50], v51
	v_lshlrev_b32_e32 v45, 16, v8
	v_fma_f64 v[49:50], s[14:15], v[12:13], v[49:50]
	v_cvt_f32_f64_e32 v49, v[49:50]
	v_cndmask_b32_e64 v49, v51, v49, s[0:1]
	v_fmac_f32_e32 v45, v49, v49
	s_and_saveexec_b64 s[34:35], s[2:3]
	s_cbranch_execz .LBB3_66
; %bb.65:                               ;   in Loop: Header=BB3_32 Depth=1
	v_mul_f32_e32 v50, 0x4f800000, v45
	v_cmp_gt_f32_e32 vcc, s37, v45
	v_cndmask_b32_e32 v51, v45, v50, vcc
	v_sqrt_f32_e32 v52, v51
	v_cvt_f64_f32_e32 v[49:50], v49
	v_add_u32_e32 v53, -1, v52
	v_fma_f32 v54, -v53, v52, v51
	v_cmp_ge_f32_e64 s[12:13], 0, v54
	v_add_u32_e32 v54, 1, v52
	v_cndmask_b32_e64 v53, v52, v53, s[12:13]
	v_fma_f32 v52, -v54, v52, v51
	v_cmp_lt_f32_e64 s[12:13], 0, v52
	v_cndmask_b32_e64 v52, v53, v54, s[12:13]
	v_mul_f32_e32 v53, 0x37800000, v52
	v_cndmask_b32_e32 v52, v52, v53, vcc
	v_cmp_class_f32_e32 vcc, v51, v42
	v_cndmask_b32_e32 v51, v52, v51, vcc
	v_cvt_f64_f32_e32 v[51:52], v51
	v_mul_f64 v[49:50], v[2:3], v[49:50]
	v_add_f64 v[51:52], s[20:21], v[51:52]
	v_div_scale_f64 v[53:54], s[12:13], v[51:52], v[51:52], v[49:50]
	v_rcp_f64_e32 v[55:56], v[53:54]
	v_fma_f64 v[57:58], -v[53:54], v[55:56], 1.0
	v_fma_f64 v[55:56], v[55:56], v[57:58], v[55:56]
	v_div_scale_f64 v[57:58], vcc, v[49:50], v[51:52], v[49:50]
	v_fma_f64 v[59:60], -v[53:54], v[55:56], 1.0
	v_fma_f64 v[55:56], v[55:56], v[59:60], v[55:56]
	v_mul_f64 v[59:60], v[57:58], v[55:56]
	v_fma_f64 v[53:54], -v[53:54], v[59:60], v[57:58]
	v_div_fmas_f64 v[53:54], v[53:54], v[55:56], v[59:60]
	v_div_fixup_f64 v[49:50], v[53:54], v[51:52], v[49:50]
	v_add_f64 v[12:13], v[12:13], -v[49:50]
	v_cvt_f32_f64_e32 v12, v[12:13]
	v_mov_b32_e32 v13, s23
	v_bfe_u32 v49, v12, 16, 1
	v_cmp_o_f32_e32 vcc, v12, v12
	v_add3_u32 v12, v12, v49, s36
	v_cndmask_b32_sdwa v49, v43, v12, vcc dst_sel:DWORD dst_unused:UNUSED_PAD src0_sel:DWORD src1_sel:WORD_1
	v_add_co_u32_e32 v12, vcc, s22, v1
	v_addc_co_u32_e32 v13, vcc, v14, v13, vcc
	global_store_short v[12:13], v49, off
.LBB3_66:                               ;   in Loop: Header=BB3_32 Depth=1
	s_or_b64 exec, exec, s[34:35]
	v_and_b32_e32 v12, 0xffff0000, v10
	v_cndmask_b32_e64 v51, v46, -v46, s[18:19]
	v_cvt_f64_f32_e32 v[12:13], v12
	v_cvt_f64_f32_e32 v[49:50], v51
	v_and_b32_e32 v46, 0xffff0000, v8
	v_fma_f64 v[49:50], s[14:15], v[12:13], v[49:50]
	v_cvt_f32_f64_e32 v49, v[49:50]
	v_cndmask_b32_e64 v49, v51, v49, s[0:1]
	v_fmac_f32_e32 v46, v49, v49
	s_and_saveexec_b64 s[34:35], s[4:5]
	s_cbranch_execz .LBB3_68
; %bb.67:                               ;   in Loop: Header=BB3_32 Depth=1
	v_mul_f32_e32 v50, 0x4f800000, v46
	v_cmp_gt_f32_e32 vcc, s37, v46
	v_cndmask_b32_e32 v51, v46, v50, vcc
	v_sqrt_f32_e32 v52, v51
	v_cvt_f64_f32_e32 v[49:50], v49
	v_add_u32_e32 v53, -1, v52
	v_fma_f32 v54, -v53, v52, v51
	v_cmp_ge_f32_e64 s[12:13], 0, v54
	v_add_u32_e32 v54, 1, v52
	v_cndmask_b32_e64 v53, v52, v53, s[12:13]
	v_fma_f32 v52, -v54, v52, v51
	v_cmp_lt_f32_e64 s[12:13], 0, v52
	v_cndmask_b32_e64 v52, v53, v54, s[12:13]
	v_mul_f32_e32 v53, 0x37800000, v52
	v_cndmask_b32_e32 v52, v52, v53, vcc
	v_cmp_class_f32_e32 vcc, v51, v42
	v_cndmask_b32_e32 v51, v52, v51, vcc
	v_cvt_f64_f32_e32 v[51:52], v51
	v_mul_f64 v[49:50], v[2:3], v[49:50]
	v_add_f64 v[51:52], s[20:21], v[51:52]
	v_div_scale_f64 v[53:54], s[12:13], v[51:52], v[51:52], v[49:50]
	v_rcp_f64_e32 v[55:56], v[53:54]
	v_fma_f64 v[57:58], -v[53:54], v[55:56], 1.0
	v_fma_f64 v[55:56], v[55:56], v[57:58], v[55:56]
	v_div_scale_f64 v[57:58], vcc, v[49:50], v[51:52], v[49:50]
	v_fma_f64 v[59:60], -v[53:54], v[55:56], 1.0
	v_fma_f64 v[55:56], v[55:56], v[59:60], v[55:56]
	v_mul_f64 v[59:60], v[57:58], v[55:56]
	v_fma_f64 v[53:54], -v[53:54], v[59:60], v[57:58]
	v_div_fmas_f64 v[53:54], v[53:54], v[55:56], v[59:60]
	v_div_fixup_f64 v[49:50], v[53:54], v[51:52], v[49:50]
	v_add_f64 v[12:13], v[12:13], -v[49:50]
	v_cvt_f32_f64_e32 v12, v[12:13]
	v_mov_b32_e32 v13, s23
	v_bfe_u32 v49, v12, 16, 1
	v_cmp_o_f32_e32 vcc, v12, v12
	v_add3_u32 v12, v12, v49, s36
	v_cndmask_b32_sdwa v49, v43, v12, vcc dst_sel:DWORD dst_unused:UNUSED_PAD src0_sel:DWORD src1_sel:WORD_1
	v_add_co_u32_e32 v12, vcc, s22, v32
	v_addc_co_u32_e32 v13, vcc, v33, v13, vcc
	global_store_short v[12:13], v49, off
.LBB3_68:                               ;   in Loop: Header=BB3_32 Depth=1
	s_or_b64 exec, exec, s[34:35]
	v_alignbit_b32 v10, v11, v10, 16
	v_and_b32_e32 v10, 0xffff0000, v10
	v_cndmask_b32_e64 v50, v48, -v48, s[18:19]
	v_cvt_f64_f32_e32 v[12:13], v10
	v_cvt_f64_f32_e32 v[48:49], v50
	v_alignbit_b32 v8, v9, v8, 16
	v_and_b32_e32 v8, 0xffff0000, v8
	v_fma_f64 v[48:49], s[14:15], v[12:13], v[48:49]
	v_cvt_f32_f64_e32 v10, v[48:49]
	v_cndmask_b32_e64 v10, v50, v10, s[0:1]
	v_fmac_f32_e32 v8, v10, v10
	s_and_saveexec_b64 s[34:35], s[6:7]
	s_cbranch_execz .LBB3_70
; %bb.69:                               ;   in Loop: Header=BB3_32 Depth=1
	v_mul_f32_e32 v48, 0x4f800000, v8
	v_cmp_gt_f32_e32 vcc, s37, v8
	v_cndmask_b32_e32 v50, v8, v48, vcc
	v_sqrt_f32_e32 v51, v50
	v_cvt_f64_f32_e32 v[48:49], v10
	v_add_u32_e32 v10, -1, v51
	v_fma_f32 v52, -v10, v51, v50
	v_cmp_ge_f32_e64 s[12:13], 0, v52
	v_add_u32_e32 v52, 1, v51
	v_cndmask_b32_e64 v10, v51, v10, s[12:13]
	v_fma_f32 v51, -v52, v51, v50
	v_cmp_lt_f32_e64 s[12:13], 0, v51
	v_cndmask_b32_e64 v10, v10, v52, s[12:13]
	v_mul_f32_e32 v51, 0x37800000, v10
	v_cndmask_b32_e32 v10, v10, v51, vcc
	v_cmp_class_f32_e32 vcc, v50, v42
	v_cndmask_b32_e32 v10, v10, v50, vcc
	v_cvt_f64_f32_e32 v[50:51], v10
	v_mul_f64 v[48:49], v[2:3], v[48:49]
	v_add_f64 v[50:51], s[20:21], v[50:51]
	v_div_scale_f64 v[52:53], s[12:13], v[50:51], v[50:51], v[48:49]
	v_rcp_f64_e32 v[54:55], v[52:53]
	v_fma_f64 v[56:57], -v[52:53], v[54:55], 1.0
	v_fma_f64 v[54:55], v[54:55], v[56:57], v[54:55]
	v_div_scale_f64 v[56:57], vcc, v[48:49], v[50:51], v[48:49]
	v_fma_f64 v[58:59], -v[52:53], v[54:55], 1.0
	v_fma_f64 v[54:55], v[54:55], v[58:59], v[54:55]
	v_mul_f64 v[58:59], v[56:57], v[54:55]
	v_fma_f64 v[52:53], -v[52:53], v[58:59], v[56:57]
	v_div_fmas_f64 v[52:53], v[52:53], v[54:55], v[58:59]
	v_div_fixup_f64 v[48:49], v[52:53], v[50:51], v[48:49]
	v_add_f64 v[12:13], v[12:13], -v[48:49]
	v_cvt_f32_f64_e32 v10, v[12:13]
	v_mov_b32_e32 v13, s23
	v_bfe_u32 v12, v10, 16, 1
	v_cmp_o_f32_e32 vcc, v10, v10
	v_add3_u32 v10, v10, v12, s36
	v_cndmask_b32_sdwa v10, v43, v10, vcc dst_sel:DWORD dst_unused:UNUSED_PAD src0_sel:DWORD src1_sel:WORD_1
	v_add_co_u32_e32 v12, vcc, s22, v21
	v_addc_co_u32_e32 v13, vcc, v22, v13, vcc
	global_store_short v[12:13], v10, off
.LBB3_70:                               ;   in Loop: Header=BB3_32 Depth=1
	s_or_b64 exec, exec, s[34:35]
	v_and_b32_e32 v10, 0xffff0000, v11
	v_cndmask_b32_e64 v47, v47, -v47, s[18:19]
	v_cvt_f64_f32_e32 v[10:11], v10
	v_cvt_f64_f32_e32 v[12:13], v47
	v_and_b32_e32 v9, 0xffff0000, v9
	v_fma_f64 v[12:13], s[14:15], v[10:11], v[12:13]
	v_cvt_f32_f64_e32 v12, v[12:13]
	v_cndmask_b32_e64 v12, v47, v12, s[0:1]
	v_fmac_f32_e32 v9, v12, v12
	s_and_saveexec_b64 s[34:35], s[8:9]
	s_cbranch_execz .LBB3_72
; %bb.71:                               ;   in Loop: Header=BB3_32 Depth=1
	v_mul_f32_e32 v13, 0x4f800000, v9
	v_cmp_gt_f32_e32 vcc, s37, v9
	v_cndmask_b32_e32 v47, v9, v13, vcc
	v_sqrt_f32_e32 v48, v47
	v_cvt_f64_f32_e32 v[12:13], v12
	v_add_u32_e32 v49, -1, v48
	v_fma_f32 v50, -v49, v48, v47
	v_cmp_ge_f32_e64 s[12:13], 0, v50
	v_add_u32_e32 v50, 1, v48
	v_cndmask_b32_e64 v49, v48, v49, s[12:13]
	v_fma_f32 v48, -v50, v48, v47
	v_cmp_lt_f32_e64 s[12:13], 0, v48
	v_cndmask_b32_e64 v48, v49, v50, s[12:13]
	v_mul_f32_e32 v49, 0x37800000, v48
	v_cndmask_b32_e32 v48, v48, v49, vcc
	v_cmp_class_f32_e32 vcc, v47, v42
	v_cndmask_b32_e32 v47, v48, v47, vcc
	v_cvt_f64_f32_e32 v[47:48], v47
	v_mul_f64 v[12:13], v[2:3], v[12:13]
	v_add_f64 v[47:48], s[20:21], v[47:48]
	v_div_scale_f64 v[49:50], s[12:13], v[47:48], v[47:48], v[12:13]
	v_rcp_f64_e32 v[51:52], v[49:50]
	v_fma_f64 v[53:54], -v[49:50], v[51:52], 1.0
	v_fma_f64 v[51:52], v[51:52], v[53:54], v[51:52]
	v_div_scale_f64 v[53:54], vcc, v[12:13], v[47:48], v[12:13]
	v_fma_f64 v[55:56], -v[49:50], v[51:52], 1.0
	v_fma_f64 v[51:52], v[51:52], v[55:56], v[51:52]
	v_mul_f64 v[55:56], v[53:54], v[51:52]
	v_fma_f64 v[49:50], -v[49:50], v[55:56], v[53:54]
	v_div_fmas_f64 v[49:50], v[49:50], v[51:52], v[55:56]
	v_div_fixup_f64 v[12:13], v[49:50], v[47:48], v[12:13]
	v_add_f64 v[10:11], v[10:11], -v[12:13]
	v_cvt_f32_f64_e32 v10, v[10:11]
	v_mov_b32_e32 v11, s23
	v_bfe_u32 v12, v10, 16, 1
	v_cmp_o_f32_e32 vcc, v10, v10
	v_add3_u32 v10, v10, v12, s36
	v_cndmask_b32_sdwa v12, v43, v10, vcc dst_sel:DWORD dst_unused:UNUSED_PAD src0_sel:DWORD src1_sel:WORD_1
	v_add_co_u32_e32 v10, vcc, s22, v15
	v_addc_co_u32_e32 v11, vcc, v16, v11, vcc
	global_store_short v[10:11], v12, off
.LBB3_72:                               ;   in Loop: Header=BB3_32 Depth=1
	s_or_b64 exec, exec, s[34:35]
	s_and_b64 vcc, exec, s[10:11]
	s_cbranch_vccnz .LBB3_79
; %bb.73:                               ;   in Loop: Header=BB3_32 Depth=1
	s_and_saveexec_b64 s[10:11], s[2:3]
	s_cbranch_execnz .LBB3_87
; %bb.74:                               ;   in Loop: Header=BB3_32 Depth=1
	s_or_b64 exec, exec, s[10:11]
	s_and_saveexec_b64 s[10:11], s[4:5]
	s_cbranch_execnz .LBB3_88
.LBB3_75:                               ;   in Loop: Header=BB3_32 Depth=1
	s_or_b64 exec, exec, s[10:11]
	s_and_saveexec_b64 s[10:11], s[6:7]
	s_cbranch_execnz .LBB3_89
.LBB3_76:                               ;   in Loop: Header=BB3_32 Depth=1
	s_or_b64 exec, exec, s[10:11]
	s_and_saveexec_b64 s[10:11], s[8:9]
	s_cbranch_execz .LBB3_78
.LBB3_77:                               ;   in Loop: Header=BB3_32 Depth=1
	v_mov_b32_e32 v6, s23
	v_add_co_u32_e32 v10, vcc, s22, v17
	v_addc_co_u32_e32 v11, vcc, v18, v6, vcc
	global_store_short_d16_hi v[10:11], v7, off
.LBB3_78:                               ;   in Loop: Header=BB3_32 Depth=1
	s_or_b64 exec, exec, s[10:11]
.LBB3_79:                               ;   in Loop: Header=BB3_32 Depth=1
	s_and_saveexec_b64 s[10:11], s[2:3]
	s_cbranch_execnz .LBB3_83
; %bb.80:                               ;   in Loop: Header=BB3_32 Depth=1
	s_or_b64 exec, exec, s[10:11]
	s_and_saveexec_b64 s[2:3], s[4:5]
	s_cbranch_execnz .LBB3_84
.LBB3_81:                               ;   in Loop: Header=BB3_32 Depth=1
	s_or_b64 exec, exec, s[2:3]
	s_and_saveexec_b64 s[2:3], s[6:7]
	s_cbranch_execnz .LBB3_85
.LBB3_82:                               ;   in Loop: Header=BB3_32 Depth=1
	s_or_b64 exec, exec, s[2:3]
	s_and_saveexec_b64 s[2:3], s[8:9]
	s_cbranch_execz .LBB3_31
	s_branch .LBB3_86
.LBB3_83:                               ;   in Loop: Header=BB3_32 Depth=1
	v_bfe_u32 v6, v45, 16, 1
	v_add3_u32 v6, v45, v6, s36
	v_cmp_o_f32_e32 vcc, v45, v45
	v_cndmask_b32_sdwa v10, v43, v6, vcc dst_sel:DWORD dst_unused:UNUSED_PAD src0_sel:DWORD src1_sel:WORD_1
	v_mov_b32_e32 v7, s23
	v_add_co_u32_e32 v6, vcc, s22, v4
	v_addc_co_u32_e32 v7, vcc, v29, v7, vcc
	global_store_short v[6:7], v10, off
	s_or_b64 exec, exec, s[10:11]
	s_and_saveexec_b64 s[2:3], s[4:5]
	s_cbranch_execz .LBB3_81
.LBB3_84:                               ;   in Loop: Header=BB3_32 Depth=1
	v_bfe_u32 v6, v46, 16, 1
	v_add3_u32 v6, v46, v6, s36
	v_cmp_o_f32_e32 vcc, v46, v46
	v_cndmask_b32_sdwa v10, v43, v6, vcc dst_sel:DWORD dst_unused:UNUSED_PAD src0_sel:DWORD src1_sel:WORD_1
	v_mov_b32_e32 v7, s23
	v_add_co_u32_e32 v6, vcc, s22, v36
	v_addc_co_u32_e32 v7, vcc, v37, v7, vcc
	global_store_short v[6:7], v10, off
	s_or_b64 exec, exec, s[2:3]
	s_and_saveexec_b64 s[2:3], s[6:7]
	s_cbranch_execz .LBB3_82
.LBB3_85:                               ;   in Loop: Header=BB3_32 Depth=1
	v_bfe_u32 v6, v8, 16, 1
	v_add3_u32 v6, v8, v6, s36
	v_cmp_o_f32_e32 vcc, v8, v8
	v_cndmask_b32_sdwa v8, v43, v6, vcc dst_sel:DWORD dst_unused:UNUSED_PAD src0_sel:DWORD src1_sel:WORD_1
	v_mov_b32_e32 v7, s23
	v_add_co_u32_e32 v6, vcc, s22, v25
	v_addc_co_u32_e32 v7, vcc, v26, v7, vcc
	global_store_short v[6:7], v8, off
	s_or_b64 exec, exec, s[2:3]
	s_and_saveexec_b64 s[2:3], s[8:9]
	s_cbranch_execz .LBB3_31
.LBB3_86:                               ;   in Loop: Header=BB3_32 Depth=1
	v_bfe_u32 v6, v9, 16, 1
	v_add3_u32 v6, v9, v6, s36
	v_cmp_o_f32_e32 vcc, v9, v9
	v_cndmask_b32_sdwa v8, v43, v6, vcc dst_sel:DWORD dst_unused:UNUSED_PAD src0_sel:DWORD src1_sel:WORD_1
	v_mov_b32_e32 v7, s23
	v_add_co_u32_e32 v6, vcc, s22, v19
	v_addc_co_u32_e32 v7, vcc, v20, v7, vcc
	global_store_short v[6:7], v8, off
	s_branch .LBB3_31
.LBB3_87:                               ;   in Loop: Header=BB3_32 Depth=1
	v_mov_b32_e32 v11, s23
	v_add_co_u32_e32 v10, vcc, s22, v27
	v_addc_co_u32_e32 v11, vcc, v28, v11, vcc
	global_store_short v[10:11], v6, off
	s_or_b64 exec, exec, s[10:11]
	s_and_saveexec_b64 s[10:11], s[4:5]
	s_cbranch_execz .LBB3_75
.LBB3_88:                               ;   in Loop: Header=BB3_32 Depth=1
	v_mov_b32_e32 v11, s23
	v_add_co_u32_e32 v10, vcc, s22, v34
	v_addc_co_u32_e32 v11, vcc, v35, v11, vcc
	global_store_short_d16_hi v[10:11], v6, off
	s_or_b64 exec, exec, s[10:11]
	s_and_saveexec_b64 s[10:11], s[6:7]
	s_cbranch_execz .LBB3_76
.LBB3_89:                               ;   in Loop: Header=BB3_32 Depth=1
	v_mov_b32_e32 v6, s23
	v_add_co_u32_e32 v10, vcc, s22, v23
	v_addc_co_u32_e32 v11, vcc, v24, v6, vcc
	global_store_short v[10:11], v7, off
	s_or_b64 exec, exec, s[10:11]
	s_and_saveexec_b64 s[10:11], s[8:9]
	s_cbranch_execnz .LBB3_77
	s_branch .LBB3_78
.LBB3_90:
	s_endpgm
	.section	.rodata,"a",@progbits
	.p2align	6, 0x0
	.amdhsa_kernel _ZN2at6native12_GLOBAL__N_125multi_tensor_apply_kernelINS1_32FusedOptimizerTensorListMetadataILi3EEENS1_23FusedAdagradMathFunctorIN3c108BFloat16EEEJPKfddddbSA_SA_EEEvT_T0_DpT1_
		.amdhsa_group_segment_fixed_size 0
		.amdhsa_private_segment_fixed_size 0
		.amdhsa_kernarg_size 3856
		.amdhsa_user_sgpr_count 6
		.amdhsa_user_sgpr_private_segment_buffer 1
		.amdhsa_user_sgpr_dispatch_ptr 0
		.amdhsa_user_sgpr_queue_ptr 0
		.amdhsa_user_sgpr_kernarg_segment_ptr 1
		.amdhsa_user_sgpr_dispatch_id 0
		.amdhsa_user_sgpr_flat_scratch_init 0
		.amdhsa_user_sgpr_private_segment_size 0
		.amdhsa_uses_dynamic_stack 0
		.amdhsa_system_sgpr_private_segment_wavefront_offset 0
		.amdhsa_system_sgpr_workgroup_id_x 1
		.amdhsa_system_sgpr_workgroup_id_y 0
		.amdhsa_system_sgpr_workgroup_id_z 0
		.amdhsa_system_sgpr_workgroup_info 0
		.amdhsa_system_vgpr_workitem_id 0
		.amdhsa_next_free_vgpr 62
		.amdhsa_next_free_sgpr 41
		.amdhsa_reserve_vcc 1
		.amdhsa_reserve_flat_scratch 0
		.amdhsa_float_round_mode_32 0
		.amdhsa_float_round_mode_16_64 0
		.amdhsa_float_denorm_mode_32 3
		.amdhsa_float_denorm_mode_16_64 3
		.amdhsa_dx10_clamp 1
		.amdhsa_ieee_mode 1
		.amdhsa_fp16_overflow 0
		.amdhsa_exception_fp_ieee_invalid_op 0
		.amdhsa_exception_fp_denorm_src 0
		.amdhsa_exception_fp_ieee_div_zero 0
		.amdhsa_exception_fp_ieee_overflow 0
		.amdhsa_exception_fp_ieee_underflow 0
		.amdhsa_exception_fp_ieee_inexact 0
		.amdhsa_exception_int_div_zero 0
	.end_amdhsa_kernel
	.section	.text._ZN2at6native12_GLOBAL__N_125multi_tensor_apply_kernelINS1_32FusedOptimizerTensorListMetadataILi3EEENS1_23FusedAdagradMathFunctorIN3c108BFloat16EEEJPKfddddbSA_SA_EEEvT_T0_DpT1_,"axG",@progbits,_ZN2at6native12_GLOBAL__N_125multi_tensor_apply_kernelINS1_32FusedOptimizerTensorListMetadataILi3EEENS1_23FusedAdagradMathFunctorIN3c108BFloat16EEEJPKfddddbSA_SA_EEEvT_T0_DpT1_,comdat
.Lfunc_end3:
	.size	_ZN2at6native12_GLOBAL__N_125multi_tensor_apply_kernelINS1_32FusedOptimizerTensorListMetadataILi3EEENS1_23FusedAdagradMathFunctorIN3c108BFloat16EEEJPKfddddbSA_SA_EEEvT_T0_DpT1_, .Lfunc_end3-_ZN2at6native12_GLOBAL__N_125multi_tensor_apply_kernelINS1_32FusedOptimizerTensorListMetadataILi3EEENS1_23FusedAdagradMathFunctorIN3c108BFloat16EEEJPKfddddbSA_SA_EEEvT_T0_DpT1_
                                        ; -- End function
	.set _ZN2at6native12_GLOBAL__N_125multi_tensor_apply_kernelINS1_32FusedOptimizerTensorListMetadataILi3EEENS1_23FusedAdagradMathFunctorIN3c108BFloat16EEEJPKfddddbSA_SA_EEEvT_T0_DpT1_.num_vgpr, 62
	.set _ZN2at6native12_GLOBAL__N_125multi_tensor_apply_kernelINS1_32FusedOptimizerTensorListMetadataILi3EEENS1_23FusedAdagradMathFunctorIN3c108BFloat16EEEJPKfddddbSA_SA_EEEvT_T0_DpT1_.num_agpr, 0
	.set _ZN2at6native12_GLOBAL__N_125multi_tensor_apply_kernelINS1_32FusedOptimizerTensorListMetadataILi3EEENS1_23FusedAdagradMathFunctorIN3c108BFloat16EEEJPKfddddbSA_SA_EEEvT_T0_DpT1_.numbered_sgpr, 41
	.set _ZN2at6native12_GLOBAL__N_125multi_tensor_apply_kernelINS1_32FusedOptimizerTensorListMetadataILi3EEENS1_23FusedAdagradMathFunctorIN3c108BFloat16EEEJPKfddddbSA_SA_EEEvT_T0_DpT1_.num_named_barrier, 0
	.set _ZN2at6native12_GLOBAL__N_125multi_tensor_apply_kernelINS1_32FusedOptimizerTensorListMetadataILi3EEENS1_23FusedAdagradMathFunctorIN3c108BFloat16EEEJPKfddddbSA_SA_EEEvT_T0_DpT1_.private_seg_size, 0
	.set _ZN2at6native12_GLOBAL__N_125multi_tensor_apply_kernelINS1_32FusedOptimizerTensorListMetadataILi3EEENS1_23FusedAdagradMathFunctorIN3c108BFloat16EEEJPKfddddbSA_SA_EEEvT_T0_DpT1_.uses_vcc, 1
	.set _ZN2at6native12_GLOBAL__N_125multi_tensor_apply_kernelINS1_32FusedOptimizerTensorListMetadataILi3EEENS1_23FusedAdagradMathFunctorIN3c108BFloat16EEEJPKfddddbSA_SA_EEEvT_T0_DpT1_.uses_flat_scratch, 0
	.set _ZN2at6native12_GLOBAL__N_125multi_tensor_apply_kernelINS1_32FusedOptimizerTensorListMetadataILi3EEENS1_23FusedAdagradMathFunctorIN3c108BFloat16EEEJPKfddddbSA_SA_EEEvT_T0_DpT1_.has_dyn_sized_stack, 0
	.set _ZN2at6native12_GLOBAL__N_125multi_tensor_apply_kernelINS1_32FusedOptimizerTensorListMetadataILi3EEENS1_23FusedAdagradMathFunctorIN3c108BFloat16EEEJPKfddddbSA_SA_EEEvT_T0_DpT1_.has_recursion, 0
	.set _ZN2at6native12_GLOBAL__N_125multi_tensor_apply_kernelINS1_32FusedOptimizerTensorListMetadataILi3EEENS1_23FusedAdagradMathFunctorIN3c108BFloat16EEEJPKfddddbSA_SA_EEEvT_T0_DpT1_.has_indirect_call, 0
	.section	.AMDGPU.csdata,"",@progbits
; Kernel info:
; codeLenInByte = 6284
; TotalNumSgprs: 45
; NumVgprs: 62
; ScratchSize: 0
; MemoryBound: 0
; FloatMode: 240
; IeeeMode: 1
; LDSByteSize: 0 bytes/workgroup (compile time only)
; SGPRBlocks: 5
; VGPRBlocks: 15
; NumSGPRsForWavesPerEU: 45
; NumVGPRsForWavesPerEU: 62
; Occupancy: 4
; WaveLimiterHint : 0
; COMPUTE_PGM_RSRC2:SCRATCH_EN: 0
; COMPUTE_PGM_RSRC2:USER_SGPR: 6
; COMPUTE_PGM_RSRC2:TRAP_HANDLER: 0
; COMPUTE_PGM_RSRC2:TGID_X_EN: 1
; COMPUTE_PGM_RSRC2:TGID_Y_EN: 0
; COMPUTE_PGM_RSRC2:TGID_Z_EN: 0
; COMPUTE_PGM_RSRC2:TIDIG_COMP_CNT: 0
	.section	.AMDGPU.gpr_maximums,"",@progbits
	.set amdgpu.max_num_vgpr, 0
	.set amdgpu.max_num_agpr, 0
	.set amdgpu.max_num_sgpr, 0
	.section	.AMDGPU.csdata,"",@progbits
	.type	__hip_cuid_86ce185bad8835e8,@object ; @__hip_cuid_86ce185bad8835e8
	.section	.bss,"aw",@nobits
	.globl	__hip_cuid_86ce185bad8835e8
__hip_cuid_86ce185bad8835e8:
	.byte	0                               ; 0x0
	.size	__hip_cuid_86ce185bad8835e8, 1

	.ident	"AMD clang version 22.0.0git (https://github.com/RadeonOpenCompute/llvm-project roc-7.2.4 26084 f58b06dce1f9c15707c5f808fd002e18c2accf7e)"
	.section	".note.GNU-stack","",@progbits
	.addrsig
	.addrsig_sym __hip_cuid_86ce185bad8835e8
	.amdgpu_metadata
---
amdhsa.kernels:
  - .args:
      - .offset:         0
        .size:           3528
        .value_kind:     by_value
      - .offset:         3528
        .size:           1
        .value_kind:     by_value
      - .address_space:  global
        .offset:         3536
        .size:           8
        .value_kind:     global_buffer
      - .offset:         3544
        .size:           8
        .value_kind:     by_value
      - .offset:         3552
        .size:           8
        .value_kind:     by_value
      - .offset:         3560
        .size:           8
        .value_kind:     by_value
      - .offset:         3568
        .size:           8
        .value_kind:     by_value
      - .offset:         3576
        .size:           1
        .value_kind:     by_value
      - .address_space:  global
        .offset:         3584
        .size:           8
        .value_kind:     global_buffer
      - .address_space:  global
        .offset:         3592
        .size:           8
        .value_kind:     global_buffer
      - .offset:         3600
        .size:           4
        .value_kind:     hidden_block_count_x
      - .offset:         3604
        .size:           4
        .value_kind:     hidden_block_count_y
      - .offset:         3608
        .size:           4
        .value_kind:     hidden_block_count_z
      - .offset:         3612
        .size:           2
        .value_kind:     hidden_group_size_x
      - .offset:         3614
        .size:           2
        .value_kind:     hidden_group_size_y
      - .offset:         3616
        .size:           2
        .value_kind:     hidden_group_size_z
      - .offset:         3618
        .size:           2
        .value_kind:     hidden_remainder_x
      - .offset:         3620
        .size:           2
        .value_kind:     hidden_remainder_y
      - .offset:         3622
        .size:           2
        .value_kind:     hidden_remainder_z
      - .offset:         3640
        .size:           8
        .value_kind:     hidden_global_offset_x
      - .offset:         3648
        .size:           8
        .value_kind:     hidden_global_offset_y
      - .offset:         3656
        .size:           8
        .value_kind:     hidden_global_offset_z
      - .offset:         3664
        .size:           2
        .value_kind:     hidden_grid_dims
    .group_segment_fixed_size: 0
    .kernarg_segment_align: 8
    .kernarg_segment_size: 3856
    .language:       OpenCL C
    .language_version:
      - 2
      - 0
    .max_flat_workgroup_size: 512
    .name:           _ZN2at6native12_GLOBAL__N_125multi_tensor_apply_kernelINS1_32FusedOptimizerTensorListMetadataILi3EEENS1_23FusedAdagradMathFunctorIdEEJPKfddddbS8_S8_EEEvT_T0_DpT1_
    .private_segment_fixed_size: 0
    .sgpr_count:     48
    .sgpr_spill_count: 0
    .symbol:         _ZN2at6native12_GLOBAL__N_125multi_tensor_apply_kernelINS1_32FusedOptimizerTensorListMetadataILi3EEENS1_23FusedAdagradMathFunctorIdEEJPKfddddbS8_S8_EEEvT_T0_DpT1_.kd
    .uniform_work_group_size: 1
    .uses_dynamic_stack: false
    .vgpr_count:     73
    .vgpr_spill_count: 0
    .wavefront_size: 64
  - .args:
      - .offset:         0
        .size:           3528
        .value_kind:     by_value
      - .offset:         3528
        .size:           1
        .value_kind:     by_value
      - .address_space:  global
        .offset:         3536
        .size:           8
        .value_kind:     global_buffer
      - .offset:         3544
        .size:           8
        .value_kind:     by_value
      - .offset:         3552
        .size:           8
        .value_kind:     by_value
      - .offset:         3560
        .size:           8
        .value_kind:     by_value
      - .offset:         3568
        .size:           8
        .value_kind:     by_value
      - .offset:         3576
        .size:           1
        .value_kind:     by_value
      - .address_space:  global
        .offset:         3584
        .size:           8
        .value_kind:     global_buffer
      - .address_space:  global
        .offset:         3592
        .size:           8
        .value_kind:     global_buffer
      - .offset:         3600
        .size:           4
        .value_kind:     hidden_block_count_x
      - .offset:         3604
        .size:           4
        .value_kind:     hidden_block_count_y
      - .offset:         3608
        .size:           4
        .value_kind:     hidden_block_count_z
      - .offset:         3612
        .size:           2
        .value_kind:     hidden_group_size_x
      - .offset:         3614
        .size:           2
        .value_kind:     hidden_group_size_y
      - .offset:         3616
        .size:           2
        .value_kind:     hidden_group_size_z
      - .offset:         3618
        .size:           2
        .value_kind:     hidden_remainder_x
      - .offset:         3620
        .size:           2
        .value_kind:     hidden_remainder_y
      - .offset:         3622
        .size:           2
        .value_kind:     hidden_remainder_z
      - .offset:         3640
        .size:           8
        .value_kind:     hidden_global_offset_x
      - .offset:         3648
        .size:           8
        .value_kind:     hidden_global_offset_y
      - .offset:         3656
        .size:           8
        .value_kind:     hidden_global_offset_z
      - .offset:         3664
        .size:           2
        .value_kind:     hidden_grid_dims
    .group_segment_fixed_size: 0
    .kernarg_segment_align: 8
    .kernarg_segment_size: 3856
    .language:       OpenCL C
    .language_version:
      - 2
      - 0
    .max_flat_workgroup_size: 512
    .name:           _ZN2at6native12_GLOBAL__N_125multi_tensor_apply_kernelINS1_32FusedOptimizerTensorListMetadataILi3EEENS1_23FusedAdagradMathFunctorIfEEJPKfddddbS8_S8_EEEvT_T0_DpT1_
    .private_segment_fixed_size: 0
    .sgpr_count:     50
    .sgpr_spill_count: 0
    .symbol:         _ZN2at6native12_GLOBAL__N_125multi_tensor_apply_kernelINS1_32FusedOptimizerTensorListMetadataILi3EEENS1_23FusedAdagradMathFunctorIfEEJPKfddddbS8_S8_EEEvT_T0_DpT1_.kd
    .uniform_work_group_size: 1
    .uses_dynamic_stack: false
    .vgpr_count:     80
    .vgpr_spill_count: 0
    .wavefront_size: 64
  - .args:
      - .offset:         0
        .size:           3528
        .value_kind:     by_value
      - .offset:         3528
        .size:           1
        .value_kind:     by_value
      - .address_space:  global
        .offset:         3536
        .size:           8
        .value_kind:     global_buffer
      - .offset:         3544
        .size:           8
        .value_kind:     by_value
      - .offset:         3552
        .size:           8
        .value_kind:     by_value
      - .offset:         3560
        .size:           8
        .value_kind:     by_value
      - .offset:         3568
        .size:           8
        .value_kind:     by_value
      - .offset:         3576
        .size:           1
        .value_kind:     by_value
      - .address_space:  global
        .offset:         3584
        .size:           8
        .value_kind:     global_buffer
      - .address_space:  global
        .offset:         3592
        .size:           8
        .value_kind:     global_buffer
      - .offset:         3600
        .size:           4
        .value_kind:     hidden_block_count_x
      - .offset:         3604
        .size:           4
        .value_kind:     hidden_block_count_y
      - .offset:         3608
        .size:           4
        .value_kind:     hidden_block_count_z
      - .offset:         3612
        .size:           2
        .value_kind:     hidden_group_size_x
      - .offset:         3614
        .size:           2
        .value_kind:     hidden_group_size_y
      - .offset:         3616
        .size:           2
        .value_kind:     hidden_group_size_z
      - .offset:         3618
        .size:           2
        .value_kind:     hidden_remainder_x
      - .offset:         3620
        .size:           2
        .value_kind:     hidden_remainder_y
      - .offset:         3622
        .size:           2
        .value_kind:     hidden_remainder_z
      - .offset:         3640
        .size:           8
        .value_kind:     hidden_global_offset_x
      - .offset:         3648
        .size:           8
        .value_kind:     hidden_global_offset_y
      - .offset:         3656
        .size:           8
        .value_kind:     hidden_global_offset_z
      - .offset:         3664
        .size:           2
        .value_kind:     hidden_grid_dims
    .group_segment_fixed_size: 0
    .kernarg_segment_align: 8
    .kernarg_segment_size: 3856
    .language:       OpenCL C
    .language_version:
      - 2
      - 0
    .max_flat_workgroup_size: 512
    .name:           _ZN2at6native12_GLOBAL__N_125multi_tensor_apply_kernelINS1_32FusedOptimizerTensorListMetadataILi3EEENS1_23FusedAdagradMathFunctorIN3c104HalfEEEJPKfddddbSA_SA_EEEvT_T0_DpT1_
    .private_segment_fixed_size: 0
    .sgpr_count:     53
    .sgpr_spill_count: 0
    .symbol:         _ZN2at6native12_GLOBAL__N_125multi_tensor_apply_kernelINS1_32FusedOptimizerTensorListMetadataILi3EEENS1_23FusedAdagradMathFunctorIN3c104HalfEEEJPKfddddbSA_SA_EEEvT_T0_DpT1_.kd
    .uniform_work_group_size: 1
    .uses_dynamic_stack: false
    .vgpr_count:     67
    .vgpr_spill_count: 0
    .wavefront_size: 64
  - .args:
      - .offset:         0
        .size:           3528
        .value_kind:     by_value
      - .offset:         3528
        .size:           1
        .value_kind:     by_value
      - .address_space:  global
        .offset:         3536
        .size:           8
        .value_kind:     global_buffer
      - .offset:         3544
        .size:           8
        .value_kind:     by_value
      - .offset:         3552
        .size:           8
        .value_kind:     by_value
      - .offset:         3560
        .size:           8
        .value_kind:     by_value
      - .offset:         3568
        .size:           8
        .value_kind:     by_value
      - .offset:         3576
        .size:           1
        .value_kind:     by_value
      - .address_space:  global
        .offset:         3584
        .size:           8
        .value_kind:     global_buffer
      - .address_space:  global
        .offset:         3592
        .size:           8
        .value_kind:     global_buffer
      - .offset:         3600
        .size:           4
        .value_kind:     hidden_block_count_x
      - .offset:         3604
        .size:           4
        .value_kind:     hidden_block_count_y
      - .offset:         3608
        .size:           4
        .value_kind:     hidden_block_count_z
      - .offset:         3612
        .size:           2
        .value_kind:     hidden_group_size_x
      - .offset:         3614
        .size:           2
        .value_kind:     hidden_group_size_y
      - .offset:         3616
        .size:           2
        .value_kind:     hidden_group_size_z
      - .offset:         3618
        .size:           2
        .value_kind:     hidden_remainder_x
      - .offset:         3620
        .size:           2
        .value_kind:     hidden_remainder_y
      - .offset:         3622
        .size:           2
        .value_kind:     hidden_remainder_z
      - .offset:         3640
        .size:           8
        .value_kind:     hidden_global_offset_x
      - .offset:         3648
        .size:           8
        .value_kind:     hidden_global_offset_y
      - .offset:         3656
        .size:           8
        .value_kind:     hidden_global_offset_z
      - .offset:         3664
        .size:           2
        .value_kind:     hidden_grid_dims
    .group_segment_fixed_size: 0
    .kernarg_segment_align: 8
    .kernarg_segment_size: 3856
    .language:       OpenCL C
    .language_version:
      - 2
      - 0
    .max_flat_workgroup_size: 512
    .name:           _ZN2at6native12_GLOBAL__N_125multi_tensor_apply_kernelINS1_32FusedOptimizerTensorListMetadataILi3EEENS1_23FusedAdagradMathFunctorIN3c108BFloat16EEEJPKfddddbSA_SA_EEEvT_T0_DpT1_
    .private_segment_fixed_size: 0
    .sgpr_count:     45
    .sgpr_spill_count: 0
    .symbol:         _ZN2at6native12_GLOBAL__N_125multi_tensor_apply_kernelINS1_32FusedOptimizerTensorListMetadataILi3EEENS1_23FusedAdagradMathFunctorIN3c108BFloat16EEEJPKfddddbSA_SA_EEEvT_T0_DpT1_.kd
    .uniform_work_group_size: 1
    .uses_dynamic_stack: false
    .vgpr_count:     62
    .vgpr_spill_count: 0
    .wavefront_size: 64
amdhsa.target:   amdgcn-amd-amdhsa--gfx906
amdhsa.version:
  - 1
  - 2
...

	.end_amdgpu_metadata
